;; amdgpu-corpus repo=ROCm/rocFFT kind=compiled arch=gfx1201 opt=O3
	.text
	.amdgcn_target "amdgcn-amd-amdhsa--gfx1201"
	.amdhsa_code_object_version 6
	.protected	bluestein_single_fwd_len1960_dim1_sp_op_CI_CI ; -- Begin function bluestein_single_fwd_len1960_dim1_sp_op_CI_CI
	.globl	bluestein_single_fwd_len1960_dim1_sp_op_CI_CI
	.p2align	8
	.type	bluestein_single_fwd_len1960_dim1_sp_op_CI_CI,@function
bluestein_single_fwd_len1960_dim1_sp_op_CI_CI: ; @bluestein_single_fwd_len1960_dim1_sp_op_CI_CI
; %bb.0:
	s_load_b128 s[12:15], s[0:1], 0x28
	v_mul_u32_u24_e32 v1, 0x493, v0
	s_mov_b32 s2, exec_lo
	v_mov_b32_e32 v5, 0
	s_delay_alu instid0(VALU_DEP_2) | instskip(NEXT) | instid1(VALU_DEP_1)
	v_lshrrev_b32_e32 v1, 16, v1
	v_add_nc_u32_e32 v4, ttmp9, v1
	s_wait_kmcnt 0x0
	s_delay_alu instid0(VALU_DEP_1)
	v_cmpx_gt_u64_e64 s[12:13], v[4:5]
	s_cbranch_execz .LBB0_23
; %bb.1:
	s_clause 0x1
	s_load_b128 s[4:7], s[0:1], 0x18
	s_load_b64 s[12:13], s[0:1], 0x0
	v_mul_lo_u16 v1, v1, 56
	s_movk_i32 s2, 0xd3d0
	s_mov_b32 s3, -1
	v_mov_b32_e32 v5, v4
	s_delay_alu instid0(VALU_DEP_2) | instskip(NEXT) | instid1(VALU_DEP_1)
	v_sub_nc_u16 v0, v0, v1
	v_and_b32_e32 v226, 0xffff, v0
	s_delay_alu instid0(VALU_DEP_1)
	v_lshlrev_b32_e32 v255, 3, v226
	v_or_b32_e32 v82, 0x1c0, v226
	s_wait_kmcnt 0x0
	s_load_b128 s[8:11], s[4:5], 0x0
	s_clause 0x7
	global_load_b64 v[136:137], v255, s[12:13]
	global_load_b64 v[126:127], v255, s[12:13] offset:448
	global_load_b64 v[130:131], v255, s[12:13] offset:896
	;; [unrolled: 1-line block ×7, first 2 shown]
	scratch_store_b64 off, v[5:6], off offset:176 ; 8-byte Folded Spill
	s_clause 0x15
	global_load_b64 v[144:145], v255, s[12:13] offset:7840
	global_load_b64 v[138:139], v255, s[12:13] offset:8288
	;; [unrolled: 1-line block ×22, first 2 shown]
	s_wait_kmcnt 0x0
	v_mad_co_u64_u32 v[0:1], null, s10, v4, 0
	v_mad_co_u64_u32 v[2:3], null, s8, v226, 0
	s_mul_u64 s[4:5], s[8:9], 0x1ea
	s_mul_u64 s[2:3], s[8:9], s[2:3]
	s_delay_alu instid0(VALU_DEP_1) | instskip(SKIP_1) | instid1(VALU_DEP_1)
	v_mad_co_u64_u32 v[4:5], null, s11, v4, v[1:2]
	s_load_b64 s[10:11], s[0:1], 0x38
	v_mad_co_u64_u32 v[5:6], null, s9, v226, v[3:4]
	v_mov_b32_e32 v1, v4
	s_delay_alu instid0(VALU_DEP_1) | instskip(NEXT) | instid1(VALU_DEP_3)
	v_lshlrev_b64_e32 v[0:1], 3, v[0:1]
	v_mov_b32_e32 v3, v5
	s_delay_alu instid0(VALU_DEP_1) | instskip(NEXT) | instid1(VALU_DEP_3)
	v_lshlrev_b64_e32 v[4:5], 3, v[2:3]
	v_add_co_u32 v2, vcc_lo, s14, v0
	s_delay_alu instid0(VALU_DEP_4) | instskip(SKIP_1) | instid1(VALU_DEP_2)
	v_add_co_ci_u32_e32 v3, vcc_lo, s15, v1, vcc_lo
	s_lshl_b64 s[14:15], s[4:5], 3
	v_add_co_u32 v0, vcc_lo, v2, v4
	s_wait_alu 0xfffd
	s_delay_alu instid0(VALU_DEP_2) | instskip(SKIP_1) | instid1(VALU_DEP_2)
	v_add_co_ci_u32_e32 v1, vcc_lo, v3, v5, vcc_lo
	s_wait_alu 0xfffe
	v_add_co_u32 v4, vcc_lo, v0, s14
	s_wait_alu 0xfffd
	s_delay_alu instid0(VALU_DEP_2) | instskip(NEXT) | instid1(VALU_DEP_2)
	v_add_co_ci_u32_e32 v5, vcc_lo, s15, v1, vcc_lo
	v_add_co_u32 v6, vcc_lo, v4, s14
	s_wait_alu 0xfffd
	s_delay_alu instid0(VALU_DEP_2) | instskip(NEXT) | instid1(VALU_DEP_2)
	v_add_co_ci_u32_e32 v7, vcc_lo, s15, v5, vcc_lo
	v_add_co_u32 v8, vcc_lo, v6, s14
	s_wait_alu 0xfffd
	s_delay_alu instid0(VALU_DEP_2)
	v_add_co_ci_u32_e32 v9, vcc_lo, s15, v7, vcc_lo
	s_clause 0x3
	global_load_b64 v[12:13], v[0:1], off
	global_load_b64 v[14:15], v[4:5], off
	;; [unrolled: 1-line block ×4, first 2 shown]
	v_add_co_u32 v10, vcc_lo, v8, s2
	s_wait_alu 0xfffd
	v_add_co_ci_u32_e32 v11, vcc_lo, s3, v9, vcc_lo
	s_delay_alu instid0(VALU_DEP_2) | instskip(SKIP_1) | instid1(VALU_DEP_2)
	v_add_co_u32 v0, vcc_lo, v10, s14
	s_wait_alu 0xfffd
	v_add_co_ci_u32_e32 v1, vcc_lo, s15, v11, vcc_lo
	global_load_b64 v[10:11], v[10:11], off
	v_add_co_u32 v4, vcc_lo, v0, s14
	s_wait_alu 0xfffd
	v_add_co_ci_u32_e32 v5, vcc_lo, s15, v1, vcc_lo
	global_load_b64 v[20:21], v[0:1], off
	;; [unrolled: 4-line block ×26, first 2 shown]
	v_add_co_u32 v0, vcc_lo, v4, s14
	s_wait_alu 0xfffd
	v_add_co_ci_u32_e32 v1, vcc_lo, s15, v5, vcc_lo
	s_mov_b32 s2, 0
	s_wait_loadcnt 0x1d
	v_mul_f32_e32 v74, v13, v137
	v_add_nc_u32_e32 v78, 0x2c00, v255
	global_load_b64 v[100:101], v255, s[12:13] offset:10976
	global_load_b64 v[70:71], v[4:5], off
	global_load_b64 v[102:103], v255, s[12:13] offset:14896
	global_load_b64 v[72:73], v[0:1], off
	s_wait_alu 0xfffe
	v_mov_b32_e32 v83, s2
	v_add_co_u32 v4, s2, s12, v255
	s_wait_alu 0xf1ff
	v_add_co_ci_u32_e64 v5, null, s13, 0, s2
	v_dual_fmac_f32 v74, v12, v136 :: v_dual_add_nc_u32 v7, 0x2000, v255
	v_dual_mul_f32 v75, v12, v137 :: v_dual_add_nc_u32 v80, 0x3400, v255
	s_clause 0x1
	scratch_store_b64 off, v[4:5], off offset:8
	scratch_store_b64 off, v[126:127], off offset:192
	s_wait_loadcnt 0x1f
	v_dual_mul_f32 v12, v17, v145 :: v_dual_add_nc_u32 v5, 0x3000, v255
	v_add_nc_u32_e32 v79, 0x2400, v255
	v_add_nc_u32_e32 v6, 0x800, v255
	v_fma_f32 v75, v13, v136, -v75
	v_mul_f32_e32 v13, v16, v145
	v_fmac_f32_e32 v12, v16, v144
	s_wait_loadcnt 0x1d
	v_mul_f32_e32 v16, v11, v127
	v_mul_f32_e32 v76, v15, v143
	;; [unrolled: 1-line block ×3, first 2 shown]
	v_add_nc_u32_e32 v9, 0x400, v255
	v_fma_f32 v13, v17, v144, -v13
	v_fmac_f32_e32 v16, v10, v126
	s_wait_loadcnt 0x1c
	v_mul_f32_e32 v10, v21, v135
	v_mul_f32_e32 v77, v14, v143
	v_fmac_f32_e32 v76, v14, v142
	v_mul_f32_e32 v14, v19, v147
	v_fma_f32 v17, v11, v126, -v81
	v_mul_f32_e32 v11, v20, v135
	v_fmac_f32_e32 v10, v20, v134
	v_fma_f32 v77, v15, v142, -v77
	v_mul_f32_e32 v15, v18, v147
	s_load_b128 s[4:7], s[6:7], 0x0
	v_fma_f32 v11, v21, v134, -v11
	s_clause 0x1
	scratch_store_b64 off, v[136:137], off offset:232
	scratch_store_b64 off, v[142:143], off offset:256
	v_fma_f32 v15, v19, v146, -v15
	s_clause 0x1
	scratch_store_b64 off, v[144:145], off offset:264
	scratch_store_b64 off, v[146:147], off offset:272
	s_wait_loadcnt 0x17
	v_mul_f32_e32 v21, v30, v125
	v_fmac_f32_e32 v14, v18, v146
	ds_store_b64 v255, v[76:77] offset:3920
	ds_store_b64 v255, v[12:13] offset:7840
	;; [unrolled: 1-line block ×3, first 2 shown]
	ds_store_2addr_b64 v255, v[74:75], v[16:17] offset1:56
	v_mul_f32_e32 v17, v28, v123
	v_mul_f32_e32 v16, v29, v123
	v_add_nc_u32_e32 v8, 0x1000, v255
	v_dual_mul_f32 v13, v22, v139 :: v_dual_mul_f32 v14, v25, v141
	s_delay_alu instid0(VALU_DEP_4) | instskip(NEXT) | instid1(VALU_DEP_4)
	v_fma_f32 v17, v29, v122, -v17
	v_fmac_f32_e32 v16, v28, v122
	v_dual_mul_f32 v15, v24, v141 :: v_dual_mul_f32 v12, v23, v139
	s_delay_alu instid0(VALU_DEP_4)
	v_dual_fmac_f32 v14, v24, v140 :: v_dual_mul_f32 v19, v26, v131
	v_mul_f32_e32 v20, v31, v125
	ds_store_2addr_b64 v8, v[10:11], v[16:17] offset0:34 offset1:90
	s_wait_loadcnt 0x16
	v_mul_f32_e32 v10, v33, v117
	v_mul_f32_e32 v11, v32, v117
	v_fma_f32 v15, v25, v140, -v15
	v_fma_f32 v13, v23, v138, -v13
	v_mul_f32_e32 v18, v27, v131
	v_fmac_f32_e32 v10, v32, v116
	v_fma_f32 v11, v33, v116, -v11
	v_fmac_f32_e32 v20, v30, v124
	s_wait_loadcnt 0x15
	v_mul_f32_e32 v16, v35, v109
	v_mul_f32_e32 v17, v34, v109
	v_fma_f32 v21, v31, v124, -v21
	ds_store_2addr_b64 v78, v[14:15], v[10:11] offset0:118 offset1:174
	s_wait_loadcnt 0x13
	v_mul_f32_e32 v15, v38, v113
	v_dual_fmac_f32 v12, v22, v138 :: v_dual_mul_f32 v11, v36, v111
	v_fma_f32 v19, v27, v130, -v19
	v_fmac_f32_e32 v16, v34, v108
	v_fma_f32 v17, v35, v108, -v17
	ds_store_2addr_b64 v7, v[12:13], v[20:21] offset0:12 offset1:68
	s_wait_loadcnt 0x11
	v_mul_f32_e32 v21, v42, v133
	v_fmac_f32_e32 v18, v26, v130
	v_mul_f32_e32 v12, v37, v111
	v_fma_f32 v13, v37, v110, -v11
	v_fma_f32 v11, v39, v112, -v15
	v_mul_f32_e32 v10, v39, v113
	ds_store_2addr_b64 v255, v[18:19], v[16:17] offset0:112 offset1:168
	s_wait_loadcnt 0x10
	v_dual_mul_f32 v17, v40, v115 :: v_dual_mul_f32 v16, v45, v129
	v_mul_f32_e32 v19, v44, v129
	v_fmac_f32_e32 v12, v36, v110
	v_mul_f32_e32 v18, v43, v133
	s_delay_alu instid0(VALU_DEP_4)
	v_fma_f32 v15, v41, v114, -v17
	v_fmac_f32_e32 v16, v44, v128
	v_fma_f32 v17, v45, v128, -v19
	s_wait_loadcnt 0xf
	v_mul_f32_e32 v20, v47, v105
	v_fma_f32 v19, v43, v132, -v21
	v_dual_mul_f32 v21, v46, v105 :: v_dual_mul_f32 v14, v41, v115
	ds_store_2addr_b64 v8, v[12:13], v[16:17] offset0:146 offset1:202
	s_wait_loadcnt 0xd
	v_mul_f32_e32 v16, v51, v121
	v_dual_mul_f32 v17, v50, v121 :: v_dual_mul_f32 v12, v49, v119
	v_dual_mul_f32 v13, v48, v119 :: v_dual_fmac_f32 v10, v38, v112
	v_fmac_f32_e32 v18, v42, v132
	v_fmac_f32_e32 v20, v46, v104
	v_fma_f32 v21, v47, v104, -v21
	v_fmac_f32_e32 v16, v50, v120
	v_fma_f32 v17, v51, v120, -v17
	v_fmac_f32_e32 v14, v40, v114
	v_fmac_f32_e32 v12, v48, v118
	v_fma_f32 v13, v49, v118, -v13
	s_clause 0xf
	scratch_store_b64 off, v[134:135], off offset:224
	scratch_store_b64 off, v[138:139], off offset:240
	;; [unrolled: 1-line block ×16, first 2 shown]
	s_wait_loadcnt 0xc
	v_mul_f32_e32 v22, v53, v107
	ds_store_2addr_b64 v7, v[10:11], v[20:21] offset0:124 offset1:180
	ds_store_2addr_b64 v5, v[14:15], v[12:13] offset0:102 offset1:158
	v_mul_f32_e32 v11, v52, v107
	ds_store_2addr_b64 v9, v[18:19], v[16:17] offset0:96 offset1:152
	s_wait_loadcnt 0x8
	v_mul_f32_e32 v16, v61, v99
	v_dual_mul_f32 v15, v60, v99 :: v_dual_mul_f32 v10, v55, v89
	v_mul_f32_e32 v13, v54, v89
	s_wait_loadcnt 0x7
	v_mul_f32_e32 v18, v63, v93
	v_dual_mul_f32 v19, v62, v93 :: v_dual_add_nc_u32 v4, 0x1800, v255
	v_fmac_f32_e32 v22, v52, v106
	v_fma_f32 v23, v53, v106, -v11
	v_fmac_f32_e32 v16, v60, v98
	v_fma_f32 v17, v61, v98, -v15
	v_mul_f32_e32 v14, v56, v97
	v_fmac_f32_e32 v10, v54, v88
	v_fma_f32 v11, v55, v88, -v13
	v_fmac_f32_e32 v18, v62, v92
	v_fma_f32 v19, v63, v92, -v19
	v_mul_f32_e32 v20, v58, v95
	v_mul_f32_e32 v12, v57, v97
	ds_store_2addr_b64 v4, v[22:23], v[16:17] offset0:2 offset1:58
	s_wait_loadcnt 0x6
	v_mul_f32_e32 v16, v65, v87
	v_mul_f32_e32 v17, v64, v87
	v_fma_f32 v13, v57, v96, -v14
	v_mul_f32_e32 v14, v59, v95
	ds_store_2addr_b64 v79, v[10:11], v[18:19] offset0:108 offset1:164
	s_wait_loadcnt 0x5
	v_mul_f32_e32 v10, v67, v91
	s_wait_loadcnt 0x4
	v_dual_mul_f32 v11, v66, v91 :: v_dual_mul_f32 v18, v69, v85
	v_mul_f32_e32 v19, v68, v85
	v_fma_f32 v15, v59, v94, -v20
	v_cmp_gt_u64_e32 vcc_lo, 0x1ea, v[82:83]
	v_fmac_f32_e32 v12, v56, v96
	v_fmac_f32_e32 v16, v64, v86
	v_fma_f32 v17, v65, v86, -v17
	v_mov_b32_e32 v24, v82
	v_fmac_f32_e32 v14, v58, v94
	v_fmac_f32_e32 v10, v66, v90
	v_fma_f32 v11, v67, v90, -v11
	v_fmac_f32_e32 v18, v68, v84
	v_fma_f32 v19, v69, v84, -v19
	s_clause 0x8
	scratch_store_b64 off, v[88:89], off offset:32
	scratch_store_b64 off, v[86:87], off offset:24
	;; [unrolled: 1-line block ×3, first 2 shown]
	scratch_store_b64 off, v[24:25], off
	scratch_store_b64 off, v[98:99], off offset:72
	scratch_store_b64 off, v[92:93], off offset:48
	;; [unrolled: 1-line block ×5, first 2 shown]
	s_wait_loadcnt 0x3
	scratch_store_b64 off, v[100:101], off offset:80 ; 8-byte Folded Spill
	s_wait_loadcnt 0x2
	v_mul_f32_e32 v20, v71, v101
	s_wait_loadcnt 0x1
	scratch_store_b64 off, v[102:103], off offset:88 ; 8-byte Folded Spill
	s_wait_loadcnt 0x0
	v_dual_mul_f32 v21, v70, v101 :: v_dual_mul_f32 v22, v73, v103
	v_dual_mul_f32 v23, v72, v103 :: v_dual_fmac_f32 v20, v70, v100
	scratch_store_b64 off, v[106:107], off offset:104 ; 8-byte Folded Spill
	v_fma_f32 v21, v71, v100, -v21
	v_fmac_f32_e32 v22, v72, v102
	v_fma_f32 v23, v73, v102, -v23
	ds_store_2addr_b64 v80, v[12:13], v[16:17] offset0:86 offset1:142
	ds_store_2addr_b64 v6, v[14:15], v[10:11] offset0:80 offset1:136
	ds_store_b64 v255, v[18:19] offset:7056
	ds_store_b64 v255, v[20:21] offset:10976
	;; [unrolled: 1-line block ×3, first 2 shown]
	s_and_saveexec_b32 s3, vcc_lo
	s_cbranch_execz .LBB0_3
; %bb.2:
	s_clause 0x1
	scratch_load_b64 v[10:11], off, off
	scratch_load_b64 v[20:21], off, off offset:8
	v_mad_co_u64_u32 v[0:1], null, 0xffffe320, s8, v[0:1]
	s_mul_i32 s2, s9, 0xffffe320
	s_wait_alu 0xfffe
	s_sub_co_i32 s2, s2, s8
	s_wait_loadcnt 0x1
	s_wait_alu 0xfffe
	s_delay_alu instid0(VALU_DEP_1) | instskip(NEXT) | instid1(VALU_DEP_1)
	v_dual_mov_b32 v12, v10 :: v_dual_add_nc_u32 v1, s2, v1
	v_mad_co_u64_u32 v[10:11], null, s8, v12, 0
	s_delay_alu instid0(VALU_DEP_1)
	v_mad_co_u64_u32 v[11:12], null, s9, v12, v[11:12]
	v_add_co_u32 v12, s2, v0, s14
	s_wait_alu 0xf1ff
	v_add_co_ci_u32_e64 v13, s2, s15, v1, s2
	s_wait_loadcnt 0x0
	s_clause 0x1
	global_load_b64 v[14:15], v[20:21], off offset:7504
	global_load_b64 v[16:17], v[20:21], off offset:11424
	global_load_b64 v[0:1], v[0:1], off
	global_load_b64 v[18:19], v[12:13], off
	v_lshlrev_b64_e32 v[10:11], 3, v[10:11]
	s_delay_alu instid0(VALU_DEP_1) | instskip(SKIP_1) | instid1(VALU_DEP_2)
	v_add_co_u32 v2, s2, v2, v10
	s_wait_alu 0xf1ff
	v_add_co_ci_u32_e64 v3, s2, v3, v11, s2
	v_add_co_u32 v10, s2, v12, s14
	s_wait_alu 0xf1ff
	v_add_co_ci_u32_e64 v11, s2, s15, v13, s2
	global_load_b64 v[12:13], v[20:21], off offset:3584
	global_load_b64 v[2:3], v[2:3], off
	global_load_b64 v[20:21], v[20:21], off offset:15344
	global_load_b64 v[10:11], v[10:11], off
	s_wait_loadcnt 0x5
	v_mul_f32_e32 v22, v1, v15
	v_mul_f32_e32 v15, v0, v15
	s_delay_alu instid0(VALU_DEP_1) | instskip(SKIP_1) | instid1(VALU_DEP_3)
	v_fma_f32 v23, v1, v14, -v15
	s_wait_loadcnt 0x4
	v_dual_mul_f32 v1, v18, v17 :: v_dual_fmac_f32 v22, v0, v14
	v_mul_f32_e32 v0, v19, v17
	s_delay_alu instid0(VALU_DEP_2) | instskip(SKIP_1) | instid1(VALU_DEP_2)
	v_fma_f32 v1, v19, v16, -v1
	s_wait_loadcnt 0x0
	v_dual_fmac_f32 v0, v18, v16 :: v_dual_mul_f32 v17, v11, v21
	v_mul_f32_e32 v14, v3, v13
	v_mul_f32_e32 v13, v2, v13
	v_mul_f32_e32 v18, v10, v21
	s_delay_alu instid0(VALU_DEP_4) | instskip(NEXT) | instid1(VALU_DEP_4)
	v_fmac_f32_e32 v17, v10, v20
	v_fmac_f32_e32 v14, v2, v12
	s_delay_alu instid0(VALU_DEP_4) | instskip(NEXT) | instid1(VALU_DEP_4)
	v_fma_f32 v15, v3, v12, -v13
	v_fma_f32 v18, v11, v20, -v18
	ds_store_b64 v255, v[14:15] offset:3584
	ds_store_b64 v255, v[22:23] offset:7504
	;; [unrolled: 1-line block ×4, first 2 shown]
.LBB0_3:
	s_wait_alu 0xfffe
	s_or_b32 exec_lo, exec_lo, s3
	v_add_nc_u32_e32 v0, 0xc00, v255
	v_add_nc_u32_e32 v1, 0x1c00, v255
	;; [unrolled: 1-line block ×3, first 2 shown]
	global_wb scope:SCOPE_SE
	s_wait_storecnt_dscnt 0x0
	s_wait_kmcnt 0x0
	s_barrier_signal -1
	s_barrier_wait -1
	global_inv scope:SCOPE_SE
	ds_load_2addr_b64 v[52:55], v255 offset1:56
	ds_load_2addr_b64 v[48:51], v0 offset0:106 offset1:162
	ds_load_2addr_b64 v[60:63], v1 offset0:84 offset1:140
	;; [unrolled: 1-line block ×4, first 2 shown]
	v_add_nc_u32_e32 v0, 0x1400, v255
	ds_load_2addr_b64 v[36:39], v8 offset0:90 offset1:146
	ds_load_2addr_b64 v[44:47], v7 offset0:68 offset1:124
	ds_load_2addr_b64 v[40:43], v5 offset0:46 offset1:102
	ds_load_2addr_b64 v[20:23], v9 offset0:96 offset1:152
	ds_load_2addr_b64 v[16:19], v0 offset0:74 offset1:130
	ds_load_2addr_b64 v[24:27], v7 offset0:180 offset1:236
	v_add_nc_u32_e32 v8, 0x3800, v255
	ds_load_2addr_b64 v[28:31], v5 offset0:158 offset1:214
	ds_load_2addr_b64 v[0:3], v6 offset0:80 offset1:136
	;; [unrolled: 1-line block ×5, first 2 shown]
	s_load_b64 s[2:3], s[0:1], 0x8
                                        ; implicit-def: $vgpr68
                                        ; implicit-def: $vgpr70
                                        ; implicit-def: $vgpr66
                                        ; implicit-def: $vgpr64
	s_and_saveexec_b32 s0, vcc_lo
	s_cbranch_execz .LBB0_5
; %bb.4:
	ds_load_b64 v[64:65], v255 offset:3584
	ds_load_b64 v[66:67], v255 offset:7504
	ds_load_b64 v[70:71], v255 offset:11424
	ds_load_b64 v[68:69], v255 offset:15344
.LBB0_5:
	s_wait_alu 0xfffe
	s_or_b32 exec_lo, exec_lo, s0
	s_wait_dscnt 0xd
	v_dual_sub_f32 v60, v52, v60 :: v_dual_sub_f32 v61, v53, v61
	s_wait_dscnt 0xc
	v_dual_sub_f32 v56, v48, v56 :: v_dual_sub_f32 v57, v49, v57
	v_add_co_u32 v90, s0, v226, 56
	s_wait_alu 0xf1ff
	v_add_co_ci_u32_e64 v72, null, 0, 0, s0
	v_add_co_u32 v87, s0, 0x118, v226
	s_wait_alu 0xf1ff
	v_add_co_ci_u32_e64 v72, null, 0, 0, s0
	v_add_co_u32 v88, s0, 0x150, v226
	v_fma_f32 v52, v52, 2.0, -v60
	v_fma_f32 v48, v48, 2.0, -v56
	s_wait_alu 0xf1ff
	v_add_co_ci_u32_e64 v72, null, 0, 0, s0
	v_add_co_u32 v89, s0, 0x188, v226
	s_wait_alu 0xf1ff
	v_add_co_ci_u32_e64 v72, null, 0, 0, s0
	v_fma_f32 v53, v53, 2.0, -v61
	v_fma_f32 v49, v49, 2.0, -v57
	v_dual_sub_f32 v48, v52, v48 :: v_dual_sub_f32 v63, v55, v63
	v_sub_f32_e32 v62, v54, v62
	v_sub_f32_e32 v72, v50, v58
	s_wait_dscnt 0x9
	v_dual_sub_f32 v58, v51, v59 :: v_dual_sub_f32 v45, v33, v45
	v_sub_f32_e32 v49, v53, v49
	v_fma_f32 v59, v54, 2.0, -v62
	v_fma_f32 v73, v55, 2.0, -v63
	s_delay_alu instid0(VALU_DEP_4)
	v_fma_f32 v55, v51, 2.0, -v58
	v_add_f32_e32 v51, v61, v56
	v_fma_f32 v54, v50, 2.0, -v72
	v_sub_f32_e32 v50, v60, v57
	s_wait_dscnt 0x8
	v_sub_f32_e32 v41, v37, v41
	v_sub_f32_e32 v57, v73, v55
	v_fma_f32 v55, v61, 2.0, -v51
	v_sub_f32_e32 v56, v59, v54
	v_dual_sub_f32 v44, v32, v44 :: v_dual_sub_f32 v47, v35, v47
	s_delay_alu instid0(VALU_DEP_4)
	v_fma_f32 v61, v73, 2.0, -v57
	v_fma_f32 v73, v33, 2.0, -v45
	;; [unrolled: 1-line block ×3, first 2 shown]
	v_sub_f32_e32 v40, v36, v40
	v_sub_f32_e32 v74, v38, v42
	;; [unrolled: 1-line block ×3, first 2 shown]
	v_fma_f32 v75, v35, 2.0, -v47
	v_dual_sub_f32 v33, v73, v33 :: v_dual_sub_f32 v46, v34, v46
	v_add_f32_e32 v35, v45, v40
	v_fma_f32 v37, v38, 2.0, -v74
	v_fma_f32 v54, v60, 2.0, -v50
	;; [unrolled: 1-line block ×4, first 2 shown]
	v_dual_sub_f32 v58, v62, v58 :: v_dual_add_f32 v59, v63, v72
	v_fma_f32 v72, v32, 2.0, -v44
	v_fma_f32 v32, v36, 2.0, -v40
	s_delay_alu instid0(VALU_DEP_4)
	v_sub_f32_e32 v40, v43, v37
	v_fma_f32 v37, v73, 2.0, -v33
	s_wait_dscnt 0x5
	v_sub_f32_e32 v73, v22, v26
	v_fma_f32 v38, v39, 2.0, -v42
	v_sub_f32_e32 v32, v72, v32
	v_sub_f32_e32 v34, v44, v41
	v_fma_f32 v39, v45, 2.0, -v35
	s_wait_dscnt 0x1
	v_sub_f32_e32 v15, v3, v15
	v_sub_f32_e32 v41, v75, v38
	v_fma_f32 v36, v72, 2.0, -v32
	v_fma_f32 v38, v44, 2.0, -v34
	;; [unrolled: 1-line block ×3, first 2 shown]
	v_sub_f32_e32 v72, v20, v24
	v_fma_f32 v45, v75, 2.0, -v41
	v_sub_f32_e32 v24, v16, v28
	v_sub_f32_e32 v28, v21, v25
	;; [unrolled: 1-line block ×3, first 2 shown]
	v_add_f32_e32 v43, v47, v74
	s_wait_dscnt 0x0
	v_dual_sub_f32 v74, v23, v27 :: v_dual_sub_f32 v75, v5, v9
	v_sub_f32_e32 v27, v18, v30
	v_fma_f32 v17, v17, 2.0, -v25
	v_fma_f32 v29, v22, 2.0, -v73
	s_delay_alu instid0(VALU_DEP_4)
	v_fma_f32 v30, v23, 2.0, -v74
	v_fma_f32 v5, v5, 2.0, -v75
	v_sub_f32_e32 v26, v19, v31
	v_fma_f32 v22, v18, 2.0, -v27
	v_add_f32_e32 v27, v74, v27
	v_fma_f32 v21, v21, 2.0, -v28
	v_sub_f32_e32 v77, v6, v10
	v_fma_f32 v23, v19, 2.0, -v26
	v_fma_f32 v78, v3, 2.0, -v15
	s_delay_alu instid0(VALU_DEP_4) | instskip(NEXT) | instid1(VALU_DEP_3)
	v_dual_sub_f32 v12, v0, v12 :: v_dual_sub_f32 v17, v21, v17
	v_dual_sub_f32 v18, v72, v25 :: v_dual_sub_f32 v25, v30, v23
	v_dual_sub_f32 v42, v46, v42 :: v_dual_add_f32 v19, v28, v24
	v_fma_f32 v16, v16, 2.0, -v24
	v_sub_f32_e32 v24, v29, v22
	v_fma_f32 v20, v20, 2.0, -v72
	v_fma_f32 v22, v72, 2.0, -v18
	v_sub_f32_e32 v72, v4, v8
	v_fma_f32 v0, v0, 2.0, -v12
	s_delay_alu instid0(VALU_DEP_4) | instskip(SKIP_1) | instid1(VALU_DEP_4)
	v_dual_sub_f32 v13, v1, v13 :: v_dual_sub_f32 v16, v20, v16
	v_sub_f32_e32 v14, v2, v14
	v_fma_f32 v4, v4, 2.0, -v72
	v_add_co_u32 v86, null, 0x70, v226
	s_delay_alu instid0(VALU_DEP_4) | instskip(SKIP_1) | instid1(VALU_DEP_4)
	v_fma_f32 v1, v1, 2.0, -v13
	v_add_co_u32 v84, null, 0xe0, v226
	v_dual_sub_f32 v8, v0, v4 :: v_dual_lshlrev_b32 v189, 5, v90
	s_delay_alu instid0(VALU_DEP_3) | instskip(SKIP_2) | instid1(VALU_DEP_4)
	v_sub_f32_e32 v9, v1, v5
	v_sub_f32_e32 v26, v73, v26
	v_fma_f32 v5, v6, 2.0, -v77
	v_fma_f32 v4, v0, 2.0, -v8
	;; [unrolled: 1-line block ×3, first 2 shown]
	v_sub_f32_e32 v2, v7, v11
	v_add_co_u32 v85, null, 0xa8, v226
	v_fma_f32 v52, v52, 2.0, -v48
	v_fma_f32 v53, v53, 2.0, -v49
	s_delay_alu instid0(VALU_DEP_4)
	v_fma_f32 v3, v7, 2.0, -v2
	v_fma_f32 v62, v62, 2.0, -v58
	;; [unrolled: 1-line block ×10, first 2 shown]
	v_sub_f32_e32 v73, v78, v3
	v_dual_sub_f32 v10, v12, v75 :: v_dual_add_f32 v75, v15, v77
	v_dual_add_f32 v11, v13, v72 :: v_dual_sub_f32 v72, v0, v5
	v_lshlrev_b32_e32 v183, 5, v87
	v_lshlrev_b32_e32 v190, 5, v226
	;; [unrolled: 1-line block ×4, first 2 shown]
	v_dual_sub_f32 v74, v14, v2 :: v_dual_lshlrev_b32 v187, 5, v85
	v_fma_f32 v46, v46, 2.0, -v42
	v_fma_f32 v47, v47, 2.0, -v43
	v_sub_f32_e32 v3, v67, v69
	global_wb scope:SCOPE_SE
	s_wait_kmcnt 0x0
	s_barrier_signal -1
	s_barrier_wait -1
	global_inv scope:SCOPE_SE
	ds_store_b128 v190, v[52:55]
	ds_store_b128 v190, v[48:51] offset:16
	ds_store_b128 v189, v[60:63]
	ds_store_b128 v189, v[56:59] offset:16
	ds_store_b128 v188, v[36:39]
	ds_store_b128 v188, v[32:35] offset:16
	ds_store_b128 v187, v[44:47]
	ds_store_b128 v187, v[40:43] offset:16
	ds_store_b128 v186, v[20:23]
	ds_store_b128 v186, v[16:19] offset:16
	ds_store_b128 v183, v[28:31]
	ds_store_b128 v183, v[24:27] offset:16
	v_fma_f32 v77, v78, 2.0, -v73
	v_fma_f32 v78, v14, 2.0, -v74
	;; [unrolled: 1-line block ×3, first 2 shown]
	scratch_load_b64 v[14:15], off, off     ; 8-byte Folded Reload
	v_fma_f32 v5, v1, 2.0, -v9
	v_fma_f32 v76, v0, 2.0, -v72
	v_dual_sub_f32 v0, v64, v70 :: v_dual_lshlrev_b32 v185, 5, v89
	v_dual_sub_f32 v1, v65, v71 :: v_dual_sub_f32 v2, v66, v68
	v_fma_f32 v7, v13, 2.0, -v11
	s_delay_alu instid0(VALU_DEP_2)
	v_dual_add_f32 v13, v2, v1 :: v_dual_lshlrev_b32 v184, 5, v88
	v_fma_f32 v6, v12, 2.0, -v10
	v_sub_f32_e32 v12, v0, v3
	ds_store_b128 v184, v[4:7]
	ds_store_b128 v184, v[8:11] offset:16
	ds_store_b128 v185, v[76:79]
	ds_store_b128 v185, v[72:75] offset:16
	s_wait_loadcnt 0x0
	v_lshlrev_b32_e32 v182, 5, v14
	s_and_saveexec_b32 s0, vcc_lo
	s_cbranch_execz .LBB0_7
; %bb.6:
	v_fma_f32 v4, v65, 2.0, -v1
	v_fma_f32 v3, v67, 2.0, -v3
	;; [unrolled: 1-line block ×4, first 2 shown]
	s_delay_alu instid0(VALU_DEP_3) | instskip(SKIP_1) | instid1(VALU_DEP_3)
	v_sub_f32_e32 v11, v4, v3
	v_fma_f32 v3, v1, 2.0, -v13
	v_sub_f32_e32 v10, v5, v2
	v_fma_f32 v2, v0, 2.0, -v12
	s_delay_alu instid0(VALU_DEP_4) | instskip(NEXT) | instid1(VALU_DEP_3)
	v_fma_f32 v1, v4, 2.0, -v11
	v_fma_f32 v0, v5, 2.0, -v10
	ds_store_b128 v182, v[0:3]
	ds_store_b128 v182, v[10:13] offset:16
.LBB0_7:
	s_wait_alu 0xfffe
	s_or_b32 exec_lo, exec_lo, s0
	v_and_b32_e32 v32, 3, v226
	global_wb scope:SCOPE_SE
	s_wait_dscnt 0x0
	s_barrier_signal -1
	s_barrier_wait -1
	global_inv scope:SCOPE_SE
	v_mul_u32_u24_e32 v0, 6, v32
	v_cmp_gt_u16_e64 s0, 28, v226
	s_delay_alu instid0(VALU_DEP_2)
	v_lshlrev_b32_e32 v8, 3, v0
	s_clause 0x2
	global_load_b128 v[0:3], v8, s[2:3]
	global_load_b128 v[4:7], v8, s[2:3] offset:16
	global_load_b128 v[8:11], v8, s[2:3] offset:32
	v_add_nc_u32_e32 v29, 0x400, v255
	v_add_nc_u32_e32 v34, 0x1800, v255
	;; [unrolled: 1-line block ×3, first 2 shown]
	ds_load_2addr_b64 v[22:25], v255 offset1:56
	ds_load_2addr_b64 v[14:17], v29 offset0:96 offset1:152
	ds_load_2addr_b64 v[18:21], v255 offset0:112 offset1:168
	;; [unrolled: 1-line block ×4, first 2 shown]
	v_add_nc_u32_e32 v31, 0x2000, v255
	v_add_nc_u32_e32 v26, 0x2800, v255
	;; [unrolled: 1-line block ×5, first 2 shown]
	ds_load_2addr_b64 v[53:56], v31 offset0:96 offset1:152
	v_add_nc_u32_e32 v66, 0x3800, v255
	v_add_nc_u32_e32 v33, 0x1c00, v255
	s_wait_loadcnt_dscnt 0x204
	v_mul_f32_e32 v65, v17, v1
	s_wait_loadcnt_dscnt 0x101
	v_mul_f32_e32 v115, v52, v5
	ds_load_2addr_b64 v[57:60], v26 offset0:64 offset1:120
	ds_load_b64 v[111:112], v255 offset:15232
	ds_load_2addr_b64 v[61:64], v35 offset0:144 offset1:200
	ds_load_2addr_b64 v[67:70], v27 offset0:80 offset1:136
	;; [unrolled: 1-line block ×6, first 2 shown]
	ds_load_2addr_b64 v[95:98], v66 offset1:56
	ds_load_2addr_b64 v[99:102], v27 offset0:192 offset1:248
	ds_load_2addr_b64 v[103:106], v33 offset0:112 offset1:168
	;; [unrolled: 1-line block ×3, first 2 shown]
	v_mul_f32_e32 v83, v16, v1
	v_mul_f32_e32 v113, v46, v3
	;; [unrolled: 1-line block ×3, first 2 shown]
	s_wait_dscnt 0xc
	v_dual_mul_f32 v116, v51, v5 :: v_dual_mul_f32 v117, v54, v7
	v_mul_f32_e32 v118, v53, v7
	v_mul_f32_e32 v125, v48, v3
	s_wait_loadcnt_dscnt 0xb
	v_dual_mul_f32 v126, v47, v3 :: v_dual_mul_f32 v119, v60, v9
	s_wait_dscnt 0x9
	v_dual_mul_f32 v120, v59, v9 :: v_dual_mul_f32 v121, v62, v11
	s_wait_dscnt 0x8
	;; [unrolled: 2-line block ×3, first 2 shown]
	v_mul_f32_e32 v143, v78, v9
	v_mul_f32_e32 v124, v67, v1
	;; [unrolled: 1-line block ×3, first 2 shown]
	v_dual_mul_f32 v130, v55, v7 :: v_dual_mul_f32 v131, v76, v9
	s_wait_dscnt 0x1
	v_mul_f32_e32 v149, v104, v5
	v_mul_f32_e32 v132, v75, v9
	s_wait_dscnt 0x0
	v_dual_mul_f32 v134, v63, v11 :: v_dual_mul_f32 v151, v108, v9
	v_mul_f32_e32 v135, v70, v1
	v_dual_mul_f32 v129, v56, v7 :: v_dual_fmac_f32 v114, v46, v2
	v_mul_f32_e32 v136, v69, v1
	v_mul_f32_e32 v139, v74, v5
	v_dual_mul_f32 v133, v64, v11 :: v_dual_fmac_f32 v118, v54, v6
	v_mul_f32_e32 v140, v73, v5
	v_dual_mul_f32 v142, v91, v7 :: v_dual_mul_f32 v33, v101, v1
	v_mul_f32_e32 v144, v77, v9
	v_dual_mul_f32 v41, v99, v1 :: v_dual_mul_f32 v148, v82, v3
	v_dual_mul_f32 v42, v81, v3 :: v_dual_mul_f32 v43, v103, v5
	v_dual_mul_f32 v153, v98, v11 :: v_dual_fmac_f32 v116, v52, v4
	v_dual_mul_f32 v156, v50, v3 :: v_dual_mul_f32 v39, v109, v9
	v_dual_mul_f32 v158, v58, v7 :: v_dual_fmac_f32 v83, v17, v0
	v_fma_f32 v16, v16, v0, -v65
	v_fma_f32 v17, v45, v2, -v113
	;; [unrolled: 1-line block ×6, first 2 shown]
	v_mul_f32_e32 v127, v72, v5
	v_dual_mul_f32 v137, v80, v3 :: v_dual_fmac_f32 v122, v62, v10
	v_dual_mul_f32 v138, v79, v3 :: v_dual_mul_f32 v155, v102, v1
	v_dual_mul_f32 v141, v92, v7 :: v_dual_fmac_f32 v136, v70, v0
	v_dual_mul_f32 v145, v96, v11 :: v_dual_fmac_f32 v140, v74, v4
	v_dual_mul_f32 v146, v95, v11 :: v_dual_mul_f32 v157, v106, v5
	v_mul_f32_e32 v147, v100, v1
	v_mul_f32_e32 v152, v107, v9
	v_dual_mul_f32 v154, v97, v11 :: v_dual_fmac_f32 v41, v100, v0
	v_dual_mul_f32 v36, v49, v3 :: v_dual_fmac_f32 v43, v104, v4
	;; [unrolled: 1-line block ×3, first 2 shown]
	v_fmac_f32_e32 v120, v60, v8
	v_fma_f32 v53, v67, v0, -v123
	v_fmac_f32_e32 v124, v68, v0
	v_fma_f32 v47, v47, v2, -v125
	v_fmac_f32_e32 v126, v48, v2
	v_dual_fmac_f32 v128, v72, v4 :: v_dual_add_f32 v67, v45, v46
	v_fma_f32 v54, v55, v6, -v129
	v_dual_fmac_f32 v130, v56, v6 :: v_dual_sub_f32 v45, v46, v45
	v_fma_f32 v55, v75, v8, -v131
	v_fmac_f32_e32 v132, v76, v8
	v_fma_f32 v56, v63, v10, -v133
	v_fmac_f32_e32 v134, v64, v10
	v_fmac_f32_e32 v42, v82, v2
	v_fma_f32 v100, v49, v2, -v156
	v_add_f32_e32 v49, v16, v52
	v_fma_f32 v102, v57, v6, -v158
	v_add_f32_e32 v57, v17, v51
	v_dual_mul_f32 v150, v94, v7 :: v_dual_mul_f32 v37, v105, v5
	v_dual_mul_f32 v44, v93, v7 :: v_dual_mul_f32 v159, v110, v9
	v_fma_f32 v48, v71, v4, -v127
	v_fma_f32 v59, v69, v0, -v135
	;; [unrolled: 1-line block ×3, first 2 shown]
	v_fmac_f32_e32 v138, v80, v2
	v_fma_f32 v61, v73, v4, -v139
	v_fma_f32 v62, v91, v6, -v141
	;; [unrolled: 1-line block ×3, first 2 shown]
	v_dual_fmac_f32 v144, v78, v8 :: v_dual_add_f32 v73, v48, v54
	v_fma_f32 v64, v95, v10, -v145
	s_delay_alu instid0(VALU_DEP_3)
	v_dual_fmac_f32 v36, v50, v2 :: v_dual_add_f32 v77, v60, v63
	v_fmac_f32_e32 v38, v58, v6
	v_add_f32_e32 v50, v83, v122
	v_dual_sub_f32 v16, v16, v52 :: v_dual_sub_f32 v95, v57, v49
	v_sub_f32_e32 v52, v83, v122
	v_dual_add_f32 v58, v114, v120 :: v_dual_sub_f32 v17, v17, v51
	v_dual_sub_f32 v51, v114, v120 :: v_dual_fmac_f32 v146, v96, v10
	v_sub_f32_e32 v46, v118, v116
	v_dual_add_f32 v69, v53, v56 :: v_dual_add_f32 v70, v124, v134
	v_dual_add_f32 v71, v47, v55 :: v_dual_add_f32 v72, v126, v132
	;; [unrolled: 1-line block ×3, first 2 shown]
	v_sub_f32_e32 v49, v49, v67
	v_dual_mul_f32 v160, v112, v11 :: v_dual_fmac_f32 v37, v106, v4
	v_dual_mul_f32 v40, v111, v11 :: v_dual_fmac_f32 v39, v110, v8
	v_dual_fmac_f32 v142, v92, v6 :: v_dual_sub_f32 v47, v47, v55
	v_fma_f32 v65, v99, v0, -v147
	v_fma_f32 v82, v103, v4, -v149
	v_fma_f32 v91, v93, v6, -v150
	v_dual_fmac_f32 v44, v94, v6 :: v_dual_add_f32 v75, v59, v64
	v_fma_f32 v92, v107, v8, -v151
	v_dual_fmac_f32 v152, v108, v8 :: v_dual_add_f32 v79, v61, v62
	v_fma_f32 v93, v97, v10, -v153
	v_dual_fmac_f32 v154, v98, v10 :: v_dual_sub_f32 v59, v59, v64
	v_fma_f32 v99, v101, v0, -v155
	v_fma_f32 v101, v105, v4, -v157
	;; [unrolled: 1-line block ×3, first 2 shown]
	v_dual_add_f32 v68, v116, v118 :: v_dual_add_f32 v97, v45, v17
	v_dual_sub_f32 v53, v53, v56 :: v_dual_sub_f32 v56, v124, v134
	v_sub_f32_e32 v55, v126, v132
	v_dual_sub_f32 v48, v54, v48 :: v_dual_sub_f32 v109, v71, v69
	v_sub_f32_e32 v54, v130, v128
	v_add_f32_e32 v76, v136, v146
	v_add_f32_e32 v78, v138, v144
	v_sub_f32_e32 v61, v62, v61
	v_dual_sub_f32 v57, v67, v57 :: v_dual_add_f32 v94, v58, v50
	v_sub_f32_e32 v117, v77, v75
	v_dual_sub_f32 v105, v45, v17 :: v_dual_add_f32 v98, v46, v51
	v_dual_sub_f32 v106, v46, v51 :: v_dual_sub_f32 v45, v16, v45
	v_sub_f32_e32 v107, v17, v16
	v_dual_sub_f32 v51, v51, v52 :: v_dual_sub_f32 v60, v60, v63
	v_dual_add_f32 v17, v71, v69 :: v_dual_add_f32 v108, v72, v70
	v_dual_add_f32 v67, v67, v83 :: v_dual_sub_f32 v110, v72, v70
	v_dual_add_f32 v83, v97, v16 :: v_dual_sub_f32 v70, v70, v74
	v_mul_f32_e32 v49, 0x3f4a47b2, v49
	v_fma_f32 v104, v111, v10, -v160
	v_dual_fmac_f32 v40, v112, v10 :: v_dual_sub_f32 v63, v138, v144
	v_sub_f32_e32 v64, v136, v146
	v_dual_add_f32 v80, v140, v142 :: v_dual_add_f32 v115, v77, v75
	v_dual_sub_f32 v62, v142, v140 :: v_dual_sub_f32 v113, v48, v47
	v_dual_sub_f32 v96, v58, v50 :: v_dual_sub_f32 v75, v75, v79
	;; [unrolled: 1-line block ×3, first 2 shown]
	v_sub_f32_e32 v69, v69, v73
	v_sub_f32_e32 v71, v73, v71
	v_add_f32_e32 v111, v48, v47
	v_add_f32_e32 v112, v54, v55
	v_dual_sub_f32 v114, v54, v55 :: v_dual_add_f32 v73, v73, v17
	v_dual_sub_f32 v47, v47, v53 :: v_dual_sub_f32 v46, v52, v46
	v_dual_sub_f32 v55, v55, v56 :: v_dual_sub_f32 v58, v68, v58
	v_add_f32_e32 v119, v61, v60
	v_sub_f32_e32 v72, v74, v72
	v_dual_add_f32 v116, v78, v76 :: v_dual_mul_f32 v69, 0x3f4a47b2, v69
	v_sub_f32_e32 v121, v61, v60
	v_dual_sub_f32 v61, v59, v61 :: v_dual_add_f32 v68, v68, v94
	v_add_f32_e32 v52, v98, v52
	v_add_f32_e32 v74, v74, v108
	v_dual_mul_f32 v94, 0x3d64c772, v57 :: v_dual_fmamk_f32 v57, v57, 0x3d64c772, v49
	v_dual_mul_f32 v98, 0xbf08b237, v105 :: v_dual_mul_f32 v105, 0xbf08b237, v106
	v_dual_sub_f32 v48, v53, v48 :: v_dual_mul_f32 v123, 0x3f5ff5aa, v51
	v_dual_sub_f32 v54, v56, v54 :: v_dual_add_f32 v53, v111, v53
	v_sub_f32_e32 v118, v78, v76
	v_dual_sub_f32 v76, v76, v80 :: v_dual_add_f32 v79, v79, v115
	v_add_f32_e32 v120, v62, v63
	v_sub_f32_e32 v122, v62, v63
	v_dual_sub_f32 v62, v64, v62 :: v_dual_add_f32 v115, v119, v59
	v_dual_sub_f32 v60, v60, v59 :: v_dual_mul_f32 v97, 0x3d64c772, v58
	v_dual_sub_f32 v78, v80, v78 :: v_dual_mul_f32 v111, 0x3d64c772, v72
	v_dual_mul_f32 v59, 0x3f4a47b2, v75 :: v_dual_add_f32 v56, v112, v56
	v_dual_mul_f32 v119, 0xbf08b237, v121 :: v_dual_add_f32 v80, v80, v116
	;; [unrolled: 1-line block ×3, first 2 shown]
	v_dual_mul_f32 v106, 0x3f5ff5aa, v107 :: v_dual_mul_f32 v121, 0x3f5ff5aa, v60
	v_fma_f32 v51, 0x3f5ff5aa, v51, -v105
	v_add_f32_e32 v23, v25, v74
	v_fma_f32 v94, 0x3f3bfb3b, v95, -v94
	v_dual_mul_f32 v112, 0xbf08b237, v113 :: v_dual_sub_f32 v63, v63, v64
	v_mul_f32_e32 v108, 0x3d64c772, v71
	v_dual_mul_f32 v113, 0xbf08b237, v114 :: v_dual_add_f32 v16, v22, v67
	v_fma_f32 v97, 0x3f3bfb3b, v96, -v97
	v_fma_f32 v49, 0xbf3bfb3b, v95, -v49
	v_fmamk_f32 v95, v45, 0x3eae86e6, v98
	v_fma_f32 v98, 0x3f5ff5aa, v107, -v98
	v_dual_add_f32 v22, v24, v73 :: v_dual_fmac_f32 v51, 0x3ee1c552, v52
	v_fma_f32 v107, 0x3f5ff5aa, v47, -v112
	v_dual_add_f32 v19, v19, v80 :: v_dual_fmamk_f32 v58, v58, 0x3d64c772, v50
	v_fma_f32 v50, 0xbf3bfb3b, v96, -v50
	v_fmamk_f32 v96, v46, 0x3eae86e6, v105
	v_fma_f32 v105, 0xbeae86e6, v45, -v106
	v_fma_f32 v106, 0xbeae86e6, v46, -v123
	v_mul_f32_e32 v75, 0x3d64c772, v77
	v_fma_f32 v45, 0x3f3bfb3b, v109, -v108
	v_fma_f32 v108, 0x3f5ff5aa, v55, -v113
	v_add_f32_e32 v18, v18, v79
	v_dual_fmac_f32 v96, 0x3ee1c552, v52 :: v_dual_fmac_f32 v105, 0x3ee1c552, v83
	v_dual_fmac_f32 v106, 0x3ee1c552, v52 :: v_dual_fmac_f32 v107, 0x3ee1c552, v53
	v_fmamk_f32 v24, v71, 0x3d64c772, v69
	v_fmamk_f32 v52, v73, 0xbf955555, v22
	v_mul_f32_e32 v114, 0x3f5ff5aa, v47
	v_mul_f32_e32 v124, 0x3f5ff5aa, v55
	v_fmamk_f32 v55, v68, 0xbf955555, v17
	v_mul_f32_e32 v70, 0x3f4a47b2, v70
	v_fma_f32 v46, 0x3f3bfb3b, v110, -v111
	v_fma_f32 v69, 0xbf3bfb3b, v109, -v69
	v_fmamk_f32 v71, v48, 0x3eae86e6, v112
	v_fmamk_f32 v47, v77, 0x3d64c772, v59
	;; [unrolled: 1-line block ×3, first 2 shown]
	v_fma_f32 v70, 0xbf3bfb3b, v110, -v70
	v_fmamk_f32 v72, v54, 0x3eae86e6, v113
	v_fma_f32 v75, 0x3f3bfb3b, v117, -v75
	v_fma_f32 v77, 0xbf3bfb3b, v117, -v59
	v_fmamk_f32 v111, v61, 0x3eae86e6, v119
	v_fma_f32 v117, 0xbeae86e6, v61, -v121
	v_add_f32_e32 v61, v45, v52
	v_fma_f32 v110, 0xbeae86e6, v54, -v124
	v_dual_fmamk_f32 v54, v67, 0xbf955555, v16 :: v_dual_fmamk_f32 v59, v74, 0xbf955555, v23
	v_add_f32_e32 v67, v24, v52
	v_fma_f32 v109, 0xbeae86e6, v48, -v114
	v_dual_fmac_f32 v98, 0x3ee1c552, v83 :: v_dual_fmac_f32 v71, 0x3ee1c552, v53
	v_fmac_f32_e32 v108, 0x3ee1c552, v56
	v_dual_fmamk_f32 v73, v79, 0xbf955555, v18 :: v_dual_fmamk_f32 v74, v80, 0xbf955555, v19
	s_delay_alu instid0(VALU_DEP_4)
	v_fmac_f32_e32 v109, 0x3ee1c552, v53
	v_add_f32_e32 v53, v57, v54
	v_dual_add_f32 v57, v94, v54 :: v_dual_add_f32 v116, v120, v64
	v_fmac_f32_e32 v95, 0x3ee1c552, v83
	v_dual_mul_f32 v64, 0x3f4a47b2, v76 :: v_dual_add_f32 v79, v47, v73
	v_dual_fmac_f32 v110, 0x3ee1c552, v56 :: v_dual_add_f32 v75, v75, v73
	v_dual_add_f32 v24, v96, v53 :: v_dual_fmac_f32 v117, 0x3ee1c552, v115
	v_sub_f32_e32 v47, v57, v51
	v_sub_f32_e32 v53, v53, v96
	v_fmac_f32_e32 v72, 0x3ee1c552, v56
	v_add_f32_e32 v56, v58, v55
	v_mul_f32_e32 v120, 0xbf08b237, v122
	v_mul_f32_e32 v76, 0x3d64c772, v78
	v_fmamk_f32 v48, v78, 0x3d64c772, v64
	v_fma_f32 v78, 0xbf3bfb3b, v118, -v64
	v_dual_add_f32 v54, v49, v54 :: v_dual_fmac_f32 v111, 0x3ee1c552, v115
	v_mul_f32_e32 v122, 0x3f5ff5aa, v63
	v_dual_add_f32 v64, v70, v59 :: v_dual_add_f32 v77, v77, v73
	v_add_f32_e32 v68, v25, v59
	v_sub_f32_e32 v25, v56, v95
	v_fma_f32 v114, 0x3f5ff5aa, v63, -v120
	v_fma_f32 v81, v81, v2, -v148
	v_fmamk_f32 v112, v62, 0x3eae86e6, v120
	v_fma_f32 v113, 0x3f5ff5aa, v60, -v119
	v_add_f32_e32 v63, v69, v52
	v_fma_f32 v76, 0x3f3bfb3b, v118, -v76
	v_add_f32_e32 v45, v106, v54
	;; [unrolled: 2-line block ×3, first 2 shown]
	v_fmac_f32_e32 v114, 0x3ee1c552, v116
	v_dual_add_f32 v62, v46, v59 :: v_dual_sub_f32 v59, v61, v108
	v_dual_add_f32 v61, v108, v61 :: v_dual_add_f32 v58, v97, v55
	v_add_f32_e32 v55, v50, v55
	v_add_f32_e32 v49, v51, v57
	v_sub_f32_e32 v51, v54, v106
	v_add_f32_e32 v57, v110, v63
	s_delay_alu instid0(VALU_DEP_4)
	v_dual_sub_f32 v63, v63, v110 :: v_dual_add_f32 v52, v105, v55
	v_add_f32_e32 v54, v95, v56
	v_dual_add_f32 v76, v76, v74 :: v_dual_fmac_f32 v113, 0x3ee1c552, v115
	v_sub_f32_e32 v73, v75, v114
	v_add_f32_e32 v60, v107, v62
	v_dual_sub_f32 v62, v62, v107 :: v_dual_add_f32 v83, v65, v93
	v_add_f32_e32 v94, v41, v154
	v_sub_f32_e32 v65, v65, v93
	v_add_f32_e32 v93, v81, v92
	v_add_f32_e32 v95, v42, v152
	v_fmac_f32_e32 v112, 0x3ee1c552, v116
	v_dual_sub_f32 v46, v55, v105 :: v_dual_add_f32 v55, v72, v67
	v_dual_add_f32 v80, v48, v74 :: v_dual_sub_f32 v67, v67, v72
	v_dual_sub_f32 v50, v58, v98 :: v_dual_sub_f32 v81, v81, v92
	v_add_f32_e32 v92, v82, v91
	v_sub_f32_e32 v82, v91, v82
	v_add_f32_e32 v78, v78, v74
	v_sub_f32_e32 v70, v80, v111
	v_add_f32_e32 v74, v113, v76
	s_delay_alu instid0(VALU_DEP_4)
	v_dual_add_f32 v80, v111, v80 :: v_dual_add_f32 v105, v82, v81
	v_sub_f32_e32 v107, v82, v81
	v_dual_sub_f32 v81, v81, v65 :: v_dual_sub_f32 v42, v42, v152
	v_sub_f32_e32 v43, v44, v43
	v_dual_add_f32 v44, v93, v83 :: v_dual_add_f32 v91, v95, v94
	v_add_f32_e32 v48, v98, v58
	v_dual_sub_f32 v58, v64, v109 :: v_dual_sub_f32 v41, v41, v154
	v_add_f32_e32 v64, v109, v64
	v_sub_f32_e32 v97, v93, v83
	v_sub_f32_e32 v82, v65, v82
	v_add_f32_e32 v65, v105, v65
	v_mul_f32_e32 v105, 0xbf08b237, v107
	v_mul_f32_e32 v107, 0x3f5ff5aa, v81
	v_dual_fmac_f32 v118, 0x3ee1c552, v116 :: v_dual_sub_f32 v93, v92, v93
	v_sub_f32_e32 v56, v68, v71
	v_add_f32_e32 v68, v71, v68
	v_dual_sub_f32 v83, v83, v92 :: v_dual_sub_f32 v72, v78, v117
	v_fma_f32 v81, 0x3f5ff5aa, v81, -v105
	global_wb scope:SCOPE_SE
	s_barrier_signal -1
	v_dual_mul_f32 v83, 0x3f4a47b2, v83 :: v_dual_add_f32 v78, v117, v78
	v_add_f32_e32 v91, v96, v91
	v_sub_f32_e32 v76, v76, v113
	v_fmac_f32_e32 v81, 0x3ee1c552, v65
	s_barrier_wait -1
	global_inv scope:SCOPE_SE
	v_add_f32_e32 v21, v21, v91
	v_add_f32_e32 v69, v112, v79
	;; [unrolled: 1-line block ×3, first 2 shown]
	v_sub_f32_e32 v77, v77, v118
	v_sub_f32_e32 v79, v79, v112
	v_dual_fmamk_f32 v91, v91, 0xbf955555, v21 :: v_dual_add_f32 v44, v92, v44
	v_lshlrev_b32_e32 v112, 2, v87
	s_delay_alu instid0(VALU_DEP_2) | instskip(NEXT) | instid1(VALU_DEP_1)
	v_add_f32_e32 v20, v20, v44
	v_fmamk_f32 v44, v44, 0xbf955555, v20
	v_add_f32_e32 v106, v43, v42
	v_dual_sub_f32 v108, v43, v42 :: v_dual_sub_f32 v43, v41, v43
	v_sub_f32_e32 v42, v42, v41
	s_delay_alu instid0(VALU_DEP_3) | instskip(SKIP_2) | instid1(VALU_DEP_2)
	v_dual_add_f32 v41, v106, v41 :: v_dual_sub_f32 v98, v95, v94
	v_dual_sub_f32 v95, v96, v95 :: v_dual_sub_f32 v94, v94, v96
	v_add_f32_e32 v75, v114, v75
	v_mul_f32_e32 v96, 0x3d64c772, v95
	s_delay_alu instid0(VALU_DEP_3) | instskip(SKIP_2) | instid1(VALU_DEP_4)
	v_mul_f32_e32 v92, 0x3f4a47b2, v94
	v_dual_mul_f32 v94, 0x3d64c772, v93 :: v_dual_fmamk_f32 v93, v93, 0x3d64c772, v83
	v_fma_f32 v83, 0xbf3bfb3b, v97, -v83
	v_fma_f32 v96, 0x3f3bfb3b, v98, -v96
	s_delay_alu instid0(VALU_DEP_4) | instskip(NEXT) | instid1(VALU_DEP_4)
	v_fmamk_f32 v95, v95, 0x3d64c772, v92
	v_fma_f32 v94, 0x3f3bfb3b, v97, -v94
	v_fma_f32 v92, 0xbf3bfb3b, v98, -v92
	v_fmamk_f32 v98, v82, 0x3eae86e6, v105
	v_fma_f32 v82, 0xbeae86e6, v82, -v107
	v_add_f32_e32 v107, v93, v44
	v_add_f32_e32 v93, v94, v44
	v_mul_f32_e32 v106, 0xbf08b237, v108
	v_dual_add_f32 v83, v83, v44 :: v_dual_add_f32 v94, v96, v91
	v_add_f32_e32 v96, v92, v91
	v_fmac_f32_e32 v98, 0x3ee1c552, v65
	s_delay_alu instid0(VALU_DEP_4) | instskip(SKIP_2) | instid1(VALU_DEP_3)
	v_fmamk_f32 v97, v43, 0x3eae86e6, v106
	v_fma_f32 v105, 0x3f5ff5aa, v42, -v106
	v_dual_fmac_f32 v82, 0x3ee1c552, v65 :: v_dual_add_f32 v65, v99, v104
	v_dual_add_f32 v92, v81, v94 :: v_dual_fmac_f32 v97, 0x3ee1c552, v41
	v_mul_f32_e32 v108, 0x3f5ff5aa, v42
	s_delay_alu instid0(VALU_DEP_4) | instskip(SKIP_2) | instid1(VALU_DEP_4)
	v_fmac_f32_e32 v105, 0x3ee1c552, v41
	v_dual_sub_f32 v94, v94, v81 :: v_dual_add_f32 v81, v33, v40
	v_sub_f32_e32 v33, v33, v40
	v_fma_f32 v106, 0xbeae86e6, v43, -v108
	v_add_f32_e32 v108, v95, v91
	v_sub_f32_e32 v44, v96, v82
	v_add_f32_e32 v96, v82, v96
	v_sub_f32_e32 v82, v99, v104
	v_dual_fmac_f32 v106, 0x3ee1c552, v41 :: v_dual_sub_f32 v99, v100, v103
	v_add_f32_e32 v40, v100, v103
	v_dual_add_f32 v100, v37, v38 :: v_dual_sub_f32 v37, v38, v37
	s_delay_alu instid0(VALU_DEP_3)
	v_add_f32_e32 v43, v106, v83
	v_sub_f32_e32 v95, v83, v106
	v_add_f32_e32 v83, v36, v39
	v_sub_f32_e32 v42, v108, v98
	v_dual_sub_f32 v36, v36, v39 :: v_dual_add_f32 v39, v101, v102
	v_sub_f32_e32 v101, v102, v101
	v_add_f32_e32 v41, v97, v107
	v_sub_f32_e32 v91, v93, v105
	v_add_f32_e32 v93, v105, v93
	v_dual_sub_f32 v97, v107, v97 :: v_dual_add_f32 v98, v98, v108
	v_add_f32_e32 v105, v101, v99
	v_sub_f32_e32 v107, v101, v99
	v_dual_sub_f32 v101, v82, v101 :: v_dual_add_f32 v106, v37, v36
	v_add_f32_e32 v102, v83, v81
	v_sub_f32_e32 v108, v37, v36
	v_sub_f32_e32 v37, v33, v37
	v_sub_f32_e32 v36, v36, v33
	v_add_f32_e32 v33, v106, v33
	v_dual_sub_f32 v104, v83, v81 :: v_dual_sub_f32 v81, v81, v100
	v_dual_add_f32 v38, v40, v65 :: v_dual_sub_f32 v99, v99, v82
	v_sub_f32_e32 v103, v40, v65
	v_dual_sub_f32 v65, v65, v39 :: v_dual_sub_f32 v40, v39, v40
	s_delay_alu instid0(VALU_DEP_3)
	v_add_f32_e32 v38, v39, v38
	v_dual_add_f32 v82, v105, v82 :: v_dual_mul_f32 v105, 0xbf08b237, v107
	v_add_f32_e32 v39, v100, v102
	v_sub_f32_e32 v83, v100, v83
	v_mul_f32_e32 v65, 0x3f4a47b2, v65
	v_dual_mul_f32 v81, 0x3f4a47b2, v81 :: v_dual_add_f32 v14, v14, v38
	s_delay_alu instid0(VALU_DEP_4) | instskip(NEXT) | instid1(VALU_DEP_4)
	v_add_f32_e32 v15, v15, v39
	v_mul_f32_e32 v102, 0x3d64c772, v83
	v_mul_f32_e32 v107, 0x3f5ff5aa, v99
	s_delay_alu instid0(VALU_DEP_4)
	v_fmamk_f32 v83, v83, 0x3d64c772, v81
	v_fma_f32 v81, 0xbf3bfb3b, v104, -v81
	v_fmamk_f32 v39, v39, 0xbf955555, v15
	v_mul_f32_e32 v100, 0x3d64c772, v40
	v_fmamk_f32 v40, v40, 0x3d64c772, v65
	v_fmamk_f32 v109, v101, 0x3eae86e6, v105
	v_fma_f32 v65, 0xbf3bfb3b, v103, -v65
	v_add_f32_e32 v83, v83, v39
	v_fma_f32 v100, 0x3f3bfb3b, v103, -v100
	v_fma_f32 v103, 0x3f5ff5aa, v99, -v105
	v_fmac_f32_e32 v109, 0x3ee1c552, v82
	v_fmamk_f32 v38, v38, 0xbf955555, v14
	v_mul_f32_e32 v106, 0xbf08b237, v108
	v_dual_mul_f32 v108, 0x3f5ff5aa, v36 :: v_dual_add_f32 v81, v81, v39
	v_fma_f32 v105, 0xbeae86e6, v101, -v107
	s_delay_alu instid0(VALU_DEP_4) | instskip(SKIP_4) | instid1(VALU_DEP_4)
	v_add_f32_e32 v101, v100, v38
	v_fma_f32 v102, 0x3f3bfb3b, v104, -v102
	v_add_f32_e32 v65, v65, v38
	v_fma_f32 v104, 0x3f5ff5aa, v36, -v106
	v_fmac_f32_e32 v103, 0x3ee1c552, v82
	v_dual_fmac_f32 v105, 0x3ee1c552, v82 :: v_dual_add_f32 v102, v102, v39
	s_delay_alu instid0(VALU_DEP_3) | instskip(SKIP_2) | instid1(VALU_DEP_4)
	v_fmac_f32_e32 v104, 0x3ee1c552, v33
	v_fmamk_f32 v110, v37, 0x3eae86e6, v106
	v_fma_f32 v106, 0xbeae86e6, v37, -v108
	v_add_f32_e32 v100, v103, v102
	v_dual_sub_f32 v102, v102, v103 :: v_dual_sub_f32 v39, v81, v105
	s_delay_alu instid0(VALU_DEP_3) | instskip(NEXT) | instid1(VALU_DEP_1)
	v_fmac_f32_e32 v106, 0x3ee1c552, v33
	v_sub_f32_e32 v103, v65, v106
	v_sub_f32_e32 v99, v101, v104
	v_add_f32_e32 v101, v104, v101
	v_fmac_f32_e32 v110, 0x3ee1c552, v33
	v_lshrrev_b32_e32 v33, 2, v226
	v_dual_sub_f32 v37, v83, v109 :: v_dual_add_f32 v40, v40, v38
	v_dual_add_f32 v38, v106, v65 :: v_dual_add_f32 v83, v109, v83
	s_delay_alu instid0(VALU_DEP_3) | instskip(SKIP_1) | instid1(VALU_DEP_4)
	v_mul_u32_u24_e32 v33, 28, v33
	v_add_f32_e32 v104, v105, v81
	v_add_f32_e32 v36, v110, v40
	v_sub_f32_e32 v82, v40, v110
	v_lshrrev_b32_e32 v40, 2, v90
	v_or_b32_e32 v33, v33, v32
	s_delay_alu instid0(VALU_DEP_1) | instskip(NEXT) | instid1(VALU_DEP_3)
	v_lshlrev_b32_e32 v65, 3, v33
	v_mul_u32_u24_e32 v33, 28, v40
	v_lshrrev_b32_e32 v40, 2, v86
	ds_store_2addr_b64 v65, v[16:17], v[24:25] offset1:4
	v_or_b32_e32 v16, v33, v32
	v_mul_u32_u24_e32 v17, 28, v40
	v_lshrrev_b32_e32 v24, 2, v85
	ds_store_2addr_b64 v65, v[45:46], v[47:48] offset0:8 offset1:12
	ds_store_2addr_b64 v65, v[49:50], v[51:52] offset0:16 offset1:20
	v_lshlrev_b32_e32 v25, 3, v16
	v_or_b32_e32 v16, v17, v32
	v_lshrrev_b32_e32 v17, 2, v84
	scratch_store_b32 off, v65, off offset:340 ; 4-byte Folded Spill
	ds_store_b64 v65, v[53:54] offset:192
	v_mul_u32_u24_e32 v24, 28, v24
	ds_store_2addr_b64 v25, v[22:23], v[55:56] offset1:4
	ds_store_2addr_b64 v25, v[57:58], v[59:60] offset0:8 offset1:12
	v_lshlrev_b32_e32 v22, 3, v16
	v_mul_u32_u24_e32 v16, 28, v17
	ds_store_2addr_b64 v25, v[61:62], v[63:64] offset0:16 offset1:20
	v_or_b32_e32 v17, v24, v32
	scratch_store_b32 off, v25, off offset:336 ; 4-byte Folded Spill
	ds_store_b64 v25, v[67:68] offset:192
	ds_store_2addr_b64 v22, v[18:19], v[69:70] offset1:4
	v_or_b32_e32 v16, v16, v32
	ds_store_2addr_b64 v22, v[71:72], v[73:74] offset0:8 offset1:12
	ds_store_2addr_b64 v22, v[75:76], v[77:78] offset0:16 offset1:20
	v_lshlrev_b32_e32 v17, 3, v17
	scratch_store_b32 off, v22, off offset:324 ; 4-byte Folded Spill
	ds_store_b64 v22, v[79:80] offset:192
	v_lshlrev_b32_e32 v16, 3, v16
	ds_store_2addr_b64 v17, v[20:21], v[41:42] offset1:4
	ds_store_2addr_b64 v17, v[43:44], v[91:92] offset0:8 offset1:12
	ds_store_2addr_b64 v17, v[93:94], v[95:96] offset0:16 offset1:20
	scratch_store_b32 off, v17, off offset:288 ; 4-byte Folded Spill
	ds_store_b64 v17, v[97:98] offset:192
	ds_store_2addr_b64 v16, v[14:15], v[36:37] offset1:4
	ds_store_2addr_b64 v16, v[38:39], v[99:100] offset0:8 offset1:12
	ds_store_2addr_b64 v16, v[101:102], v[103:104] offset0:16 offset1:20
	scratch_store_b32 off, v16, off offset:284 ; 4-byte Folded Spill
	ds_store_b64 v16, v[82:83] offset:192
	global_wb scope:SCOPE_SE
	s_wait_storecnt_dscnt 0x0
	s_barrier_signal -1
	s_barrier_wait -1
	global_inv scope:SCOPE_SE
	ds_load_2addr_b64 v[18:21], v255 offset1:56
	ds_load_2addr_b64 v[14:17], v34 offset0:128 offset1:212
	ds_load_2addr_b64 v[62:65], v31 offset0:12 offset1:68
	ds_load_2addr_b64 v[38:41], v255 offset0:112 offset1:168
	ds_load_2addr_b64 v[70:73], v31 offset0:124 offset1:180
	ds_load_2addr_b64 v[42:45], v29 offset0:96 offset1:152
	v_add_nc_u32_e32 v29, 0x2c00, v255
	ds_load_2addr_b64 v[78:81], v28 offset0:108 offset1:164
	ds_load_2addr_b64 v[46:49], v27 offset0:80 offset1:136
	;; [unrolled: 1-line block ×11, first 2 shown]
	v_lshlrev_b32_e32 v103, 2, v226
	v_lshlrev_b32_e32 v102, 2, v90
	;; [unrolled: 1-line block ×4, first 2 shown]
	s_and_saveexec_b32 s1, s0
	s_cbranch_execz .LBB0_9
; %bb.8:
	ds_load_b64 v[82:83], v255 offset:7616
	ds_load_b64 v[12:13], v255 offset:15456
.LBB0_9:
	s_wait_alu 0xfffe
	s_or_b32 exec_lo, exec_lo, s1
	v_lshrrev_b16 v91, 2, v90
	v_lshrrev_b16 v92, 2, v86
	v_lshrrev_b16 v95, 2, v85
	v_lshrrev_b16 v97, 2, v87
	v_add_co_u32 v93, s1, 0xffffffe4, v226
	v_and_b32_e32 v91, 63, v91
	v_and_b32_e32 v92, 63, v92
	;; [unrolled: 1-line block ×3, first 2 shown]
	s_wait_alu 0xf1ff
	v_add_co_ci_u32_e64 v94, null, 0, -1, s1
	v_mul_lo_u16 v91, v91, 37
	v_mul_lo_u16 v92, v92, 37
	;; [unrolled: 1-line block ×3, first 2 shown]
	v_and_b32_e32 v97, 0xffff, v97
	v_lshrrev_b16 v96, 2, v84
	v_lshrrev_b16 v98, 8, v91
	;; [unrolled: 1-line block ×4, first 2 shown]
	v_cndmask_b32_e64 v92, v94, 0, s0
	v_cndmask_b32_e64 v91, v93, v226, s0
	v_mul_lo_u16 v94, v98, 28
	v_mul_lo_u16 v106, v99, 28
	v_mul_u32_u24_e32 v97, 0x4925, v97
	v_mul_lo_u16 v108, v95, 28
	v_lshlrev_b64_e32 v[92:93], 3, v[91:92]
	v_sub_nc_u16 v90, v90, v94
	v_sub_nc_u16 v94, v86, v106
	v_lshrrev_b32_e32 v97, 17, v97
	v_sub_nc_u16 v108, v85, v108
	v_lshrrev_b16 v104, 2, v88
	v_and_b32_e32 v90, 0xff, v90
	v_and_b32_e32 v94, 0xff, v94
	v_add_co_u32 v92, s1, s2, v92
	v_mul_lo_u16 v110, v97, 28
	v_and_b32_e32 v108, 0xff, v108
	s_wait_alu 0xf1ff
	v_add_co_ci_u32_e64 v93, s1, s3, v93, s1
	v_lshlrev_b32_e32 v106, 3, v90
	v_lshlrev_b32_e32 v107, 3, v94
	v_lshrrev_b16 v105, 2, v89
	v_sub_nc_u16 v87, v87, v110
	v_lshlrev_b32_e32 v110, 3, v108
	s_clause 0x3
	global_load_b64 v[131:132], v[92:93], off offset:192
	global_load_b64 v[137:138], v106, s[2:3] offset:192
	global_load_b64 v[135:136], v107, s[2:3] offset:192
	;; [unrolled: 1-line block ×3, first 2 shown]
	v_and_b32_e32 v96, 0xffff, v96
	v_and_b32_e32 v104, 0xffff, v104
	;; [unrolled: 1-line block ×3, first 2 shown]
	v_add_nc_u16 v110, v226, 0x1f8
	v_add_nc_u16 v122, v226, 0x2d8
	v_mul_u32_u24_e32 v96, 0x4925, v96
	v_mul_u32_u24_e32 v104, 0x4925, v104
	;; [unrolled: 1-line block ×3, first 2 shown]
	v_add_nc_u16 v123, v226, 0x310
	v_add_nc_u16 v124, v226, 0x3b8
	v_lshrrev_b32_e32 v96, 17, v96
	v_lshrrev_b32_e32 v104, 17, v104
	;; [unrolled: 1-line block ×3, first 2 shown]
	v_cmp_lt_u16_e64 s1, 27, v226
	v_lshrrev_b16 v127, 2, v124
	v_mul_lo_u16 v109, v96, 28
	v_mul_lo_u16 v111, v104, 28
	;; [unrolled: 1-line block ×3, first 2 shown]
	v_and_b32_e32 v95, 0xffff, v95
	v_and_b32_e32 v99, 0xffff, v99
	v_sub_nc_u16 v109, v84, v109
	v_sub_nc_u16 v88, v88, v111
	;; [unrolled: 1-line block ×3, first 2 shown]
	v_and_b32_e32 v113, 0xffff, v87
	v_mul_u32_u24_e32 v95, 56, v95
	v_and_b32_e32 v111, 0xffff, v109
	v_and_b32_e32 v114, 0xffff, v88
	;; [unrolled: 1-line block ×3, first 2 shown]
	v_lshlrev_b32_e32 v93, 3, v113
	v_add_nc_u16 v113, v226, 0x268
	v_lshlrev_b32_e32 v92, 3, v111
	v_lshlrev_b32_e32 v106, 3, v114
	;; [unrolled: 1-line block ×3, first 2 shown]
	s_clause 0x3
	global_load_b64 v[194:195], v92, s[2:3] offset:192
	global_load_b64 v[192:193], v93, s[2:3] offset:192
	global_load_b64 v[141:142], v106, s[2:3] offset:192
	global_load_b64 v[139:140], v107, s[2:3] offset:192
	scratch_load_b64 v[92:93], off, off     ; 8-byte Folded Reload
	v_add_nc_u16 v111, v226, 0x230
	s_wait_loadcnt 0x0
	v_lshrrev_b16 v93, 2, v110
	v_lshrrev_b16 v107, 2, v113
	v_add_nc_u16 v114, v226, 0x2a0
	v_mad_u16 v88, v104, 56, v88
	v_lshrrev_b16 v106, 2, v111
	v_and_b32_e32 v93, 0xffff, v93
	v_and_b32_e32 v107, 0xffff, v107
	v_lshrrev_b16 v115, 2, v114
	v_mad_u16 v96, v96, 56, v109
	v_and_b32_e32 v106, 0xffff, v106
	v_mad_u16 v87, v97, 56, v87
	v_mul_u32_u24_e32 v107, 0x4925, v107
	v_and_b32_e32 v115, 0xffff, v115
	v_mad_u16 v89, v105, 56, v89
	v_mul_u32_u24_e32 v106, 0x4925, v106
	s_delay_alu instid0(VALU_DEP_4) | instskip(NEXT) | instid1(VALU_DEP_4)
	v_lshrrev_b32_e32 v107, 17, v107
	v_mul_u32_u24_e32 v115, 0x4925, v115
	s_delay_alu instid0(VALU_DEP_3) | instskip(NEXT) | instid1(VALU_DEP_3)
	v_lshrrev_b32_e32 v106, 17, v106
	v_mul_lo_u16 v119, v107, 28
	s_delay_alu instid0(VALU_DEP_3) | instskip(NEXT) | instid1(VALU_DEP_3)
	v_lshrrev_b32_e32 v115, 17, v115
	v_mul_lo_u16 v118, v106, 28
	s_delay_alu instid0(VALU_DEP_3) | instskip(NEXT) | instid1(VALU_DEP_2)
	v_sub_nc_u16 v113, v113, v119
	v_sub_nc_u16 v111, v111, v118
	s_wait_dscnt 0x8
	s_delay_alu instid0(VALU_DEP_2) | instskip(SKIP_2) | instid1(VALU_DEP_3)
	v_dual_mul_f32 v104, v74, v140 :: v_dual_and_b32 v121, 0xffff, v113
	v_mov_b32_e32 v120, v92
	v_mul_u32_u24_e32 v93, 0x4925, v93
	v_fmac_f32_e32 v104, v75, v139
	s_delay_alu instid0(VALU_DEP_3) | instskip(NEXT) | instid1(VALU_DEP_3)
	v_lshrrev_b16 v92, 2, v120
	v_lshrrev_b32_e32 v93, 17, v93
	s_delay_alu instid0(VALU_DEP_2) | instskip(NEXT) | instid1(VALU_DEP_2)
	v_and_b32_e32 v92, 0xffff, v92
	v_mul_lo_u16 v117, v93, 28
	s_delay_alu instid0(VALU_DEP_2) | instskip(NEXT) | instid1(VALU_DEP_2)
	v_mul_u32_u24_e32 v92, 0x4925, v92
	v_sub_nc_u16 v110, v110, v117
	v_mul_lo_u16 v117, v115, 28
	s_delay_alu instid0(VALU_DEP_3) | instskip(NEXT) | instid1(VALU_DEP_3)
	v_lshrrev_b32_e32 v92, 17, v92
	v_and_b32_e32 v119, 0xffff, v110
	s_delay_alu instid0(VALU_DEP_3) | instskip(NEXT) | instid1(VALU_DEP_3)
	v_sub_nc_u16 v114, v114, v117
	v_mul_lo_u16 v116, v92, 28
	s_delay_alu instid0(VALU_DEP_1) | instskip(SKIP_1) | instid1(VALU_DEP_2)
	v_sub_nc_u16 v116, v120, v116
	v_and_b32_e32 v120, 0xffff, v111
	v_and_b32_e32 v118, 0xffff, v116
	v_mad_u16 v92, v92, 56, v116
	v_add_lshl_u32 v116, v95, v108, 3
	v_mad_u16 v95, v115, 56, v114
	s_delay_alu instid0(VALU_DEP_4)
	v_lshlrev_b32_e32 v117, 3, v118
	v_lshlrev_b32_e32 v118, 3, v119
	;; [unrolled: 1-line block ×4, first 2 shown]
	s_clause 0x3
	global_load_b64 v[202:203], v117, s[2:3] offset:192
	global_load_b64 v[200:201], v118, s[2:3] offset:192
	;; [unrolled: 1-line block ×4, first 2 shown]
	v_lshrrev_b16 v118, 2, v122
	v_add_nc_u16 v119, v226, 0x348
	v_lshrrev_b16 v120, 2, v123
	v_and_b32_e32 v121, 0xffff, v114
	v_and_b32_e32 v127, 0xffff, v127
	;; [unrolled: 1-line block ×3, first 2 shown]
	v_lshrrev_b16 v125, 2, v119
	v_and_b32_e32 v120, 0xffff, v120
	v_lshlrev_b32_e32 v117, 3, v121
	v_or_b32_e32 v121, 0x380, v226
	v_mul_u32_u24_e32 v118, 0x4925, v118
	v_and_b32_e32 v125, 0xffff, v125
	v_mul_u32_u24_e32 v120, 0x4925, v120
	v_mul_u32_u24_e32 v127, 0x4925, v127
	v_lshrrev_b16 v126, 2, v121
	v_lshrrev_b32_e32 v118, 17, v118
	v_mul_u32_u24_e32 v125, 0x4925, v125
	v_lshrrev_b32_e32 v120, 17, v120
	v_lshrrev_b32_e32 v127, 17, v127
	v_and_b32_e32 v126, 0xffff, v126
	v_mul_lo_u16 v128, v118, 28
	v_lshrrev_b32_e32 v125, 17, v125
	v_mul_lo_u16 v129, v120, 28
	v_mul_lo_u16 v127, v127, 28
	v_mul_u32_u24_e32 v126, 0x4925, v126
	v_sub_nc_u16 v122, v122, v128
	v_mul_lo_u16 v128, v125, 28
	v_sub_nc_u16 v123, v123, v129
	v_sub_nc_u16 v124, v124, v127
	v_lshrrev_b32_e32 v126, 17, v126
	v_and_b32_e32 v130, 0xffff, v122
	v_sub_nc_u16 v119, v119, v128
	v_and_b32_e32 v128, 0xffff, v123
	global_load_b64 v[212:213], v117, s[2:3] offset:192
	v_mul_lo_u16 v129, v126, 28
	v_lshlrev_b32_e32 v127, 3, v130
	v_mad_u16 v97, v120, 56, v123
	v_lshlrev_b32_e32 v128, 3, v128
	s_delay_alu instid0(VALU_DEP_4)
	v_sub_nc_u16 v121, v121, v129
	s_clause 0x1
	global_load_b64 v[210:211], v127, s[2:3] offset:192
	global_load_b64 v[208:209], v128, s[2:3] offset:192
	v_and_b32_e32 v129, 0xffff, v119
	v_and_b32_e32 v130, 0xffff, v121
	;; [unrolled: 1-line block ×3, first 2 shown]
	s_delay_alu instid0(VALU_DEP_3) | instskip(NEXT) | instid1(VALU_DEP_3)
	v_lshlrev_b32_e32 v117, 3, v129
	v_lshlrev_b32_e32 v127, 3, v130
	s_clause 0x1
	global_load_b64 v[206:207], v117, s[2:3] offset:192
	global_load_b64 v[204:205], v127, s[2:3] offset:192
	v_lshlrev_b32_e32 v124, 3, v124
	s_wait_alu 0xf1ff
	v_cndmask_b32_e64 v117, 0, 56, s1
	global_load_b64 v[127:128], v124, s[2:3] offset:192
	v_and_b32_e32 v98, 0xffff, v98
	v_add_lshl_u32 v129, v91, v117, 3
	scratch_store_b32 off, v124, off offset:280 ; 4-byte Folded Spill
	global_wb scope:SCOPE_SE
	s_wait_storecnt 0x0
	s_wait_loadcnt_dscnt 0x0
	s_barrier_signal -1
	v_mul_u32_u24_e32 v91, 56, v98
	v_mul_u32_u24_e32 v98, 56, v99
	s_barrier_wait -1
	global_inv scope:SCOPE_SE
	v_mad_u16 v99, v126, 56, v121
	v_add_lshl_u32 v124, v91, v90, 3
	v_and_b32_e32 v90, 0xffff, v96
	v_and_b32_e32 v91, 0xffff, v92
	v_mad_u16 v96, v118, 56, v122
	v_mad_u16 v92, v93, 56, v110
	;; [unrolled: 1-line block ×3, first 2 shown]
	v_lshlrev_b32_e32 v122, 3, v90
	v_lshlrev_b32_e32 v115, 3, v91
	v_and_b32_e32 v90, 0xffff, v95
	v_and_b32_e32 v91, 0xffff, v96
	v_mul_f32_e32 v95, v17, v132
	v_mul_f32_e32 v96, v16, v132
	s_clause 0x1
	scratch_store_b64 off, v[131:132], off offset:292
	scratch_store_b64 off, v[133:134], off offset:300
	v_lshlrev_b32_e32 v111, 3, v90
	v_fma_f32 v16, v16, v131, -v95
	v_fmac_f32_e32 v96, v17, v131
	v_dual_mul_f32 v90, v64, v136 :: v_dual_mul_f32 v95, v79, v193
	s_clause 0x1
	scratch_store_b64 off, v[137:138], off offset:316
	scratch_store_b64 off, v[135:136], off offset:308
	v_sub_f32_e32 v16, v18, v16
	v_dual_sub_f32 v17, v19, v96 :: v_dual_mul_f32 v96, v78, v193
	v_add_lshl_u32 v117, v98, v94, 3
	v_mad_u16 v98, v125, 56, v119
	s_delay_alu instid0(VALU_DEP_4) | instskip(NEXT) | instid1(VALU_DEP_4)
	v_fma_f32 v18, v18, 2.0, -v16
	v_fma_f32 v19, v19, 2.0, -v17
	v_fmac_f32_e32 v96, v79, v192
	v_dual_mul_f32 v91, v71, v134 :: v_dual_lshlrev_b32 v110, 3, v91
	v_fmac_f32_e32 v90, v65, v135
	v_and_b32_e32 v88, 0xffff, v88
	ds_store_2addr_b64 v129, v[18:19], v[16:17] offset1:28
	v_mad_u16 v94, v107, 56, v113
	v_fma_f32 v18, v70, v133, -v91
	v_and_b32_e32 v87, 0xffff, v87
	v_lshlrev_b32_e32 v120, 3, v88
	scratch_store_b64 off, v[139:140], off offset:328 ; 8-byte Folded Spill
	v_dual_sub_f32 v18, v40, v18 :: v_dual_lshlrev_b32 v121, 3, v87
	v_and_b32_e32 v87, 0xffff, v92
	s_delay_alu instid0(VALU_DEP_2) | instskip(NEXT) | instid1(VALU_DEP_2)
	v_fma_f32 v40, v40, 2.0, -v18
	v_dual_mul_f32 v87, v63, v138 :: v_dual_lshlrev_b32 v118, 3, v87
	s_delay_alu instid0(VALU_DEP_1) | instskip(SKIP_2) | instid1(VALU_DEP_2)
	v_fma_f32 v16, v62, v137, -v87
	v_mul_f32_e32 v106, v76, v203
	v_mul_f32_e32 v105, v77, v203
	v_dual_mul_f32 v19, v51, v201 :: v_dual_fmac_f32 v106, v77, v202
	v_mul_f32_e32 v77, v56, v213
	v_and_b32_e32 v88, 0xffff, v93
	v_and_b32_e32 v93, 0xffff, v98
	s_delay_alu instid0(VALU_DEP_3) | instskip(NEXT) | instid1(VALU_DEP_2)
	v_dual_mul_f32 v98, v80, v142 :: v_dual_fmac_f32 v77, v57, v212
	v_dual_mul_f32 v93, v73, v195 :: v_dual_lshlrev_b32 v108, 3, v93
	s_delay_alu instid0(VALU_DEP_2)
	v_fmac_f32_e32 v98, v81, v141
	v_lshlrev_b32_e32 v114, 3, v88
	v_mul_f32_e32 v88, v62, v138
	v_mul_f32_e32 v79, v58, v211
	v_fma_f32 v62, v72, v194, -v93
	v_and_b32_e32 v89, 0xffff, v89
	s_delay_alu instid0(VALU_DEP_4)
	v_fmac_f32_e32 v88, v63, v137
	v_fma_f32 v63, v78, v192, -v95
	v_mul_f32_e32 v78, v59, v211
	v_mul_f32_e32 v87, v67, v207
	;; [unrolled: 1-line block ×3, first 2 shown]
	v_dual_mul_f32 v97, v81, v142 :: v_dual_and_b32 v92, 0xffff, v97
	s_delay_alu instid0(VALU_DEP_4) | instskip(NEXT) | instid1(VALU_DEP_4)
	v_fma_f32 v78, v58, v210, -v78
	v_fma_f32 v87, v66, v206, -v87
	s_delay_alu instid0(VALU_DEP_4) | instskip(NEXT) | instid1(VALU_DEP_4)
	v_fmac_f32_e32 v93, v69, v204
	v_dual_mul_f32 v92, v70, v134 :: v_dual_lshlrev_b32 v109, 3, v92
	v_fma_f32 v70, v76, v202, -v105
	v_lshlrev_b32_e32 v119, 3, v89
	v_and_b32_e32 v89, 0xffff, v94
	v_dual_mul_f32 v91, v69, v205 :: v_dual_and_b32 v94, 0xffff, v99
	v_mul_f32_e32 v99, v75, v140
	v_mul_f32_e32 v95, v13, v128
	s_delay_alu instid0(VALU_DEP_4)
	v_lshlrev_b32_e32 v113, 3, v89
	v_mul_f32_e32 v89, v65, v136
	v_fma_f32 v91, v68, v204, -v91
	v_sub_f32_e32 v68, v32, v78
	v_fmac_f32_e32 v92, v71, v133
	v_fma_f32 v65, v74, v139, -v99
	v_fma_f32 v17, v64, v135, -v89
	;; [unrolled: 1-line block ×3, first 2 shown]
	v_mul_f32_e32 v97, v12, v128
	v_mul_f32_e32 v71, v50, v201
	;; [unrolled: 1-line block ×5, first 2 shown]
	v_fmac_f32_e32 v97, v13, v127
	v_sub_f32_e32 v13, v21, v88
	v_dual_mul_f32 v94, v72, v195 :: v_dual_lshlrev_b32 v107, 3, v94
	v_mul_f32_e32 v72, v53, v199
	v_mul_f32_e32 v80, v61, v209
	;; [unrolled: 1-line block ×3, first 2 shown]
	s_delay_alu instid0(VALU_DEP_4)
	v_dual_mul_f32 v89, v66, v207 :: v_dual_fmac_f32 v94, v73, v194
	v_mul_f32_e32 v73, v52, v199
	v_fma_f32 v99, v50, v200, -v19
	v_fmac_f32_e32 v71, v51, v200
	v_fma_f32 v72, v52, v198, -v72
	v_fma_f32 v74, v54, v196, -v74
	v_fmac_f32_e32 v73, v53, v198
	v_fmac_f32_e32 v75, v55, v196
	v_fma_f32 v76, v56, v212, -v76
	v_fmac_f32_e32 v79, v59, v210
	v_fma_f32 v80, v60, v208, -v80
	v_fmac_f32_e32 v81, v61, v208
	v_fmac_f32_e32 v89, v67, v206
	v_fma_f32 v95, v12, v127, -v95
	v_sub_f32_e32 v12, v20, v16
	v_dual_sub_f32 v16, v38, v17 :: v_dual_sub_f32 v17, v39, v90
	v_dual_sub_f32 v19, v41, v92 :: v_dual_sub_f32 v50, v42, v62
	;; [unrolled: 1-line block ×3, first 2 shown]
	v_sub_f32_e32 v53, v45, v96
	v_dual_sub_f32 v54, v46, v64 :: v_dual_sub_f32 v55, v47, v98
	v_dual_sub_f32 v56, v48, v65 :: v_dual_sub_f32 v57, v49, v104
	v_sub_f32_e32 v58, v22, v70
	v_dual_sub_f32 v59, v23, v106 :: v_dual_sub_f32 v214, v82, v95
	v_sub_f32_e32 v60, v24, v99
	v_dual_sub_f32 v61, v25, v71 :: v_dual_sub_f32 v62, v26, v72
	v_dual_sub_f32 v63, v27, v73 :: v_dual_sub_f32 v64, v28, v74
	;; [unrolled: 1-line block ×3, first 2 shown]
	v_sub_f32_e32 v67, v31, v77
	v_dual_sub_f32 v69, v33, v79 :: v_dual_sub_f32 v70, v34, v80
	v_dual_sub_f32 v71, v35, v81 :: v_dual_sub_f32 v72, v36, v87
	;; [unrolled: 1-line block ×3, first 2 shown]
	v_sub_f32_e32 v75, v15, v93
	v_fma_f32 v20, v20, 2.0, -v12
	v_fma_f32 v21, v21, 2.0, -v13
	;; [unrolled: 1-line block ×15, first 2 shown]
	v_sub_f32_e32 v215, v83, v97
	v_fma_f32 v24, v24, 2.0, -v60
	v_fma_f32 v25, v25, 2.0, -v61
	;; [unrolled: 1-line block ×16, first 2 shown]
	s_clause 0x2
	scratch_store_b64 off, v[141:142], off offset:344
	scratch_store_b32 off, v107, off offset:352
	scratch_store_b64 off, v[127:128], off offset:432
	ds_store_2addr_b64 v124, v[20:21], v[12:13] offset1:28
	ds_store_2addr_b64 v117, v[38:39], v[16:17] offset1:28
	s_clause 0x4
	scratch_store_b32 off, v116, off offset:372
	scratch_store_b32 off, v113, off offset:376
	scratch_store_b32 off, v124, off offset:388
	scratch_store_b32 off, v117, off offset:384
	scratch_store_b32 off, v114, off offset:380
	ds_store_2addr_b64 v116, v[40:41], v[18:19] offset1:28
	ds_store_2addr_b64 v122, v[42:43], v[50:51] offset1:28
	;; [unrolled: 1-line block ×5, first 2 shown]
	s_clause 0x6
	scratch_store_b32 off, v115, off offset:392
	scratch_store_b32 off, v118, off offset:396
	;; [unrolled: 1-line block ×7, first 2 shown]
	ds_store_2addr_b64 v115, v[22:23], v[58:59] offset1:28
	ds_store_2addr_b64 v118, v[24:25], v[60:61] offset1:28
	;; [unrolled: 1-line block ×4, first 2 shown]
	s_clause 0x2
	scratch_store_b32 off, v111, off offset:368
	scratch_store_b32 off, v110, off offset:364
	;; [unrolled: 1-line block ×3, first 2 shown]
	ds_store_2addr_b64 v111, v[30:31], v[66:67] offset1:28
	ds_store_2addr_b64 v110, v[32:33], v[68:69] offset1:28
	;; [unrolled: 1-line block ×3, first 2 shown]
	scratch_store_b32 off, v108, off offset:356 ; 4-byte Folded Spill
	ds_store_2addr_b64 v108, v[36:37], v[72:73] offset1:28
	ds_store_2addr_b64 v107, v[14:15], v[74:75] offset1:28
	s_and_saveexec_b32 s1, s0
	s_cbranch_execz .LBB0_11
; %bb.10:
	scratch_load_b32 v14, off, off offset:280 ; 4-byte Folded Reload
	v_fma_f32 v13, v83, 2.0, -v215
	v_fma_f32 v12, v82, 2.0, -v214
	s_wait_loadcnt 0x0
	v_add_nc_u32_e32 v14, 0x3800, v14
	ds_store_2addr_b64 v14, v[12:13], v[214:215] offset0:112 offset1:140
.LBB0_11:
	s_wait_alu 0xfffe
	s_or_b32 exec_lo, exec_lo, s1
	v_mad_co_u64_u32 v[24:25], null, v226, 48, s[2:3]
	global_wb scope:SCOPE_SE
	s_wait_storecnt_dscnt 0x0
	s_barrier_signal -1
	s_barrier_wait -1
	global_inv scope:SCOPE_SE
	v_add_nc_u32_e32 v126, 0x1000, v255
	v_add_nc_u32_e32 v142, 0x1800, v255
	s_clause 0x1
	global_load_b128 v[16:19], v[24:25], off offset:416
	global_load_b128 v[12:15], v[24:25], off offset:432
	v_add_nc_u32_e32 v127, 0x400, v255
	v_add_nc_u32_e32 v138, 0x3000, v255
	ds_load_2addr_b64 v[20:23], v126 offset0:48 offset1:104
	ds_load_2addr_b64 v[66:69], v142 offset0:16 offset1:72
	;; [unrolled: 1-line block ×4, first 2 shown]
	v_add_nc_u32_e32 v128, 0x1c00, v255
	v_add_nc_u32_e32 v143, 0x2800, v255
	;; [unrolled: 1-line block ×4, first 2 shown]
	ds_load_2addr_b64 v[38:41], v143 offset0:176 offset1:232
	s_wait_loadcnt_dscnt 0x101
	v_dual_mul_f32 v26, v21, v19 :: v_dual_mul_f32 v49, v62, v17
	v_mul_f32_e32 v42, v20, v19
	s_wait_loadcnt 0x0
	v_dual_mul_f32 v104, v22, v19 :: v_dual_mul_f32 v51, v68, v13
	s_delay_alu instid0(VALU_DEP_3) | instskip(NEXT) | instid1(VALU_DEP_3)
	v_dual_fmac_f32 v49, v63, v16 :: v_dual_add_nc_u32 v134, 0x2000, v255
	v_dual_mul_f32 v27, v23, v19 :: v_dual_fmac_f32 v42, v21, v18
	v_fma_f32 v43, v20, v18, -v26
	s_delay_alu instid0(VALU_DEP_4) | instskip(NEXT) | instid1(VALU_DEP_3)
	v_dual_fmac_f32 v104, v23, v18 :: v_dual_fmac_f32 v51, v69, v12
	v_fma_f32 v105, v22, v18, -v27
	ds_load_2addr_b64 v[20:23], v134 offset0:96 offset1:152
	v_mul_f32_e32 v115, v34, v13
	s_wait_dscnt 0x0
	s_delay_alu instid0(VALU_DEP_1) | instskip(SKIP_3) | instid1(VALU_DEP_4)
	v_dual_fmac_f32 v115, v35, v12 :: v_dual_mul_f32 v26, v21, v15
	v_mul_f32_e32 v44, v20, v15
	v_mul_f32_e32 v27, v23, v15
	;; [unrolled: 1-line block ×3, first 2 shown]
	v_fma_f32 v45, v20, v14, -v26
	s_delay_alu instid0(VALU_DEP_4) | instskip(NEXT) | instid1(VALU_DEP_4)
	v_fmac_f32_e32 v44, v21, v14
	v_fma_f32 v107, v22, v14, -v27
	s_delay_alu instid0(VALU_DEP_4)
	v_fmac_f32_e32 v108, v23, v14
	global_load_b128 v[20:23], v[24:25], off offset:448
	ds_load_2addr_b64 v[24:27], v138 offset0:144 offset1:200
	v_add_f32_e32 v54, v51, v44
	v_dual_add_f32 v131, v115, v108 :: v_dual_add_nc_u32 v144, 0x800, v255
	s_wait_loadcnt_dscnt 0x0
	v_mul_f32_e32 v28, v25, v23
	v_mul_f32_e32 v47, v24, v23
	;; [unrolled: 1-line block ×4, first 2 shown]
	s_delay_alu instid0(VALU_DEP_4) | instskip(NEXT) | instid1(VALU_DEP_4)
	v_fma_f32 v46, v24, v22, -v28
	v_dual_mul_f32 v24, v27, v23 :: v_dual_fmac_f32 v47, v25, v22
	s_delay_alu instid0(VALU_DEP_3) | instskip(SKIP_1) | instid1(VALU_DEP_3)
	v_fmac_f32_e32 v110, v27, v22
	v_fmac_f32_e32 v117, v39, v20
	v_fma_f32 v109, v26, v22, -v24
	v_mul_f32_e32 v24, v63, v17
	ds_load_2addr_b64 v[26:29], v144 offset0:80 offset1:136
	v_add_f32_e32 v145, v49, v47
	v_fma_f32 v48, v62, v16, -v24
	ds_load_2addr_b64 v[62:65], v143 offset0:64 offset1:120
	v_mul_f32_e32 v24, v69, v13
	v_add_f32_e32 v120, v48, v46
	v_sub_f32_e32 v149, v48, v46
	s_delay_alu instid0(VALU_DEP_3)
	v_fma_f32 v50, v68, v12, -v24
	s_wait_dscnt 0x1
	v_mul_f32_e32 v113, v26, v17
	s_wait_dscnt 0x0
	v_mul_f32_e32 v24, v65, v21
	v_mul_f32_e32 v53, v64, v21
	s_delay_alu instid0(VALU_DEP_3) | instskip(NEXT) | instid1(VALU_DEP_3)
	v_fmac_f32_e32 v113, v27, v16
	v_fma_f32 v52, v64, v20, -v24
	s_delay_alu instid0(VALU_DEP_3)
	v_dual_mul_f32 v24, v27, v17 :: v_dual_fmac_f32 v53, v65, v20
	v_add_f32_e32 v130, v104, v117
	ds_load_b64 v[64:65], v255 offset:15232
	v_sub_f32_e32 v151, v43, v52
	v_fma_f32 v111, v26, v16, -v24
	v_mul_f32_e32 v24, v35, v13
	v_dual_add_f32 v121, v43, v52 :: v_dual_add_f32 v146, v42, v53
	s_delay_alu instid0(VALU_DEP_3) | instskip(NEXT) | instid1(VALU_DEP_3)
	v_add_f32_e32 v122, v111, v109
	v_fma_f32 v114, v34, v12, -v24
	v_mul_f32_e32 v24, v39, v21
	s_delay_alu instid0(VALU_DEP_2) | instskip(NEXT) | instid1(VALU_DEP_2)
	v_add_f32_e32 v124, v114, v107
	v_fma_f32 v116, v38, v20, -v24
	v_add_f32_e32 v38, v50, v45
	v_add_f32_e32 v24, v121, v120
	s_delay_alu instid0(VALU_DEP_3) | instskip(NEXT) | instid1(VALU_DEP_2)
	v_add_f32_e32 v123, v105, v116
	v_add_f32_e32 v39, v38, v24
	v_dual_add_f32 v24, v146, v145 :: v_dual_add_f32 v125, v113, v110
	s_delay_alu instid0(VALU_DEP_1) | instskip(NEXT) | instid1(VALU_DEP_1)
	v_dual_add_f32 v55, v54, v24 :: v_dual_add_f32 v24, v123, v122
	v_add_f32_e32 v132, v124, v24
	s_delay_alu instid0(VALU_DEP_3) | instskip(NEXT) | instid1(VALU_DEP_1)
	v_add_f32_e32 v24, v130, v125
	v_add_f32_e32 v133, v131, v24
	ds_load_2addr_b64 v[24:27], v255 offset1:56
	s_wait_dscnt 0x0
	v_add_f32_e32 v99, v25, v55
	v_dual_add_f32 v98, v24, v39 :: v_dual_sub_f32 v153, v38, v121
	v_lshrrev_b16 v24, 3, v86
	v_dual_add_f32 v96, v26, v132 :: v_dual_add_f32 v97, v27, v133
	s_delay_alu instid0(VALU_DEP_3) | instskip(NEXT) | instid1(VALU_DEP_3)
	v_dual_sub_f32 v152, v42, v53 :: v_dual_fmamk_f32 v163, v39, 0xbf955555, v98
	v_and_b32_e32 v24, 31, v24
	v_fmamk_f32 v164, v55, 0xbf955555, v99
	s_delay_alu instid0(VALU_DEP_2) | instskip(NEXT) | instid1(VALU_DEP_1)
	v_mul_lo_u16 v24, v24, 37
	v_lshrrev_b16 v24, 8, v24
	s_delay_alu instid0(VALU_DEP_1) | instskip(NEXT) | instid1(VALU_DEP_1)
	v_mul_lo_u16 v24, v24, 56
	v_sub_nc_u16 v24, v86, v24
	s_delay_alu instid0(VALU_DEP_1) | instskip(NEXT) | instid1(VALU_DEP_1)
	v_and_b32_e32 v118, 0xff, v24
	v_mad_co_u64_u32 v[30:31], null, v118, 48, s[2:3]
	global_load_b128 v[24:27], v[30:31], off offset:416
	s_wait_loadcnt 0x0
	v_mul_f32_e32 v32, v29, v25
	v_mul_f32_e32 v137, v28, v25
	s_delay_alu instid0(VALU_DEP_2)
	v_fma_f32 v139, v28, v24, -v32
	global_load_b128 v[32:35], v[30:31], off offset:432
	v_dual_fmac_f32 v137, v29, v24 :: v_dual_sub_f32 v154, v54, v146
	s_wait_loadcnt 0x0
	v_mul_f32_e32 v28, v37, v33
	v_mul_f32_e32 v135, v36, v33
	s_delay_alu instid0(VALU_DEP_2) | instskip(SKIP_3) | instid1(VALU_DEP_1)
	v_fma_f32 v136, v36, v32, -v28
	global_load_b128 v[28:31], v[30:31], off offset:448
	v_fmac_f32_e32 v135, v37, v32
	v_lshrrev_b16 v37, 3, v84
	v_and_b32_e32 v37, 0xffff, v37
	s_delay_alu instid0(VALU_DEP_1) | instskip(NEXT) | instid1(VALU_DEP_1)
	v_mul_u32_u24_e32 v37, 0x2493, v37
	v_lshrrev_b32_e32 v37, 16, v37
	s_delay_alu instid0(VALU_DEP_1) | instskip(NEXT) | instid1(VALU_DEP_1)
	v_mul_lo_u16 v37, v37, 56
	v_sub_nc_u16 v106, v84, v37
	v_sub_f32_e32 v37, v45, v50
	s_delay_alu instid0(VALU_DEP_1) | instskip(SKIP_2) | instid1(VALU_DEP_1)
	v_sub_f32_e32 v43, v37, v151
	v_sub_f32_e32 v155, v149, v37
	v_add_f32_e32 v42, v37, v151
	v_dual_mul_f32 v160, 0xbf08b237, v43 :: v_dual_add_f32 v157, v42, v149
	s_delay_alu instid0(VALU_DEP_1) | instskip(NEXT) | instid1(VALU_DEP_1)
	v_dual_fmamk_f32 v165, v155, 0x3eae86e6, v160 :: v_dual_sub_f32 v150, v49, v47
	v_fmac_f32_e32 v165, 0x3ee1c552, v157
	s_wait_loadcnt 0x0
	v_mul_f32_e32 v36, v41, v29
	v_mul_f32_e32 v140, v40, v29
	s_delay_alu instid0(VALU_DEP_2) | instskip(SKIP_1) | instid1(VALU_DEP_3)
	v_fma_f32 v141, v40, v28, -v36
	v_lshrrev_b16 v36, 3, v85
	v_dual_fmac_f32 v140, v41, v28 :: v_dual_sub_f32 v41, v120, v38
	v_sub_f32_e32 v38, v145, v54
	s_delay_alu instid0(VALU_DEP_2) | instskip(NEXT) | instid1(VALU_DEP_2)
	v_dual_mul_f32 v159, 0x3f4a47b2, v41 :: v_dual_and_b32 v36, 31, v36
	v_dual_mul_f32 v161, 0x3f4a47b2, v38 :: v_dual_sub_f32 v40, v44, v51
	s_delay_alu instid0(VALU_DEP_2) | instskip(NEXT) | instid1(VALU_DEP_2)
	v_mul_lo_u16 v36, v36, 37
	v_add_f32_e32 v37, v40, v152
	s_delay_alu instid0(VALU_DEP_2) | instskip(NEXT) | instid1(VALU_DEP_2)
	v_lshrrev_b16 v36, 8, v36
	v_add_f32_e32 v158, v37, v150
	s_delay_alu instid0(VALU_DEP_2) | instskip(SKIP_1) | instid1(VALU_DEP_2)
	v_mul_lo_u16 v36, v36, 56
	v_fmamk_f32 v37, v153, 0x3d64c772, v159
	v_sub_nc_u16 v36, v85, v36
	s_delay_alu instid0(VALU_DEP_2) | instskip(SKIP_2) | instid1(VALU_DEP_4)
	v_add_f32_e32 v167, v37, v163
	v_dual_fmamk_f32 v37, v154, 0x3d64c772, v161 :: v_dual_sub_f32 v44, v40, v152
	v_sub_f32_e32 v156, v150, v40
	v_and_b32_e32 v119, 0xff, v36
	v_mul_lo_u16 v36, v106, 48
	s_delay_alu instid0(VALU_DEP_4) | instskip(SKIP_1) | instid1(VALU_DEP_4)
	v_add_f32_e32 v168, v37, v164
	v_mul_f32_e32 v162, 0xbf08b237, v44
	v_mad_co_u64_u32 v[38:39], null, v119, 48, s[2:3]
	s_delay_alu instid0(VALU_DEP_4) | instskip(NEXT) | instid1(VALU_DEP_3)
	v_and_b32_e32 v36, 0xffff, v36
	v_fmamk_f32 v166, v156, 0x3eae86e6, v162
	v_sub_f32_e32 v148, v168, v165
	s_delay_alu instid0(VALU_DEP_3)
	v_add_co_u32 v36, s1, s2, v36
	s_wait_alu 0xf1ff
	v_add_co_ci_u32_e64 v37, null, s3, 0, s1
	s_clause 0x5
	global_load_b128 v[56:59], v[38:39], off offset:416
	global_load_b128 v[52:55], v[38:39], off offset:432
	;; [unrolled: 1-line block ×6, first 2 shown]
	v_fmac_f32_e32 v166, 0x3ee1c552, v158
	ds_load_2addr_b64 v[80:83], v255 offset0:112 offset1:168
	ds_load_2addr_b64 v[92:95], v126 offset0:160 offset1:216
	;; [unrolled: 1-line block ×3, first 2 shown]
	ds_load_2addr_b64 v[84:87], v239 offset1:56
	ds_load_2addr_b64 v[76:79], v144 offset0:192 offset1:248
	ds_load_2addr_b64 v[72:75], v128 offset0:112 offset1:168
	;; [unrolled: 1-line block ×3, first 2 shown]
	global_wb scope:SCOPE_SE
	s_wait_loadcnt_dscnt 0x0
	s_barrier_signal -1
	s_barrier_wait -1
	v_add_f32_e32 v147, v166, v167
	global_inv scope:SCOPE_SE
	ds_store_2addr_b64 v255, v[98:99], v[147:148] offset1:56
	v_sub_f32_e32 v98, v121, v120
	v_sub_f32_e32 v120, v151, v149
	;; [unrolled: 1-line block ×4, first 2 shown]
	v_mul_f32_e32 v145, 0x3d64c772, v153
	s_delay_alu instid0(VALU_DEP_4) | instskip(SKIP_1) | instid1(VALU_DEP_3)
	v_fma_f32 v146, 0x3f5ff5aa, v120, -v160
	v_mul_f32_e32 v120, 0x3f5ff5aa, v120
	v_fma_f32 v145, 0x3f3bfb3b, v98, -v145
	v_fma_f32 v98, 0xbf3bfb3b, v98, -v159
	s_delay_alu instid0(VALU_DEP_4) | instskip(NEXT) | instid1(VALU_DEP_4)
	v_fmac_f32_e32 v146, 0x3ee1c552, v157
	v_fma_f32 v147, 0xbeae86e6, v155, -v120
	s_delay_alu instid0(VALU_DEP_4) | instskip(SKIP_1) | instid1(VALU_DEP_3)
	v_dual_mul_f32 v120, 0x3f5ff5aa, v121 :: v_dual_add_f32 v145, v145, v163
	v_fma_f32 v148, 0x3f5ff5aa, v121, -v162
	v_dual_add_f32 v150, v98, v163 :: v_dual_fmac_f32 v147, 0x3ee1c552, v157
	s_delay_alu instid0(VALU_DEP_3) | instskip(SKIP_1) | instid1(VALU_DEP_4)
	v_fma_f32 v149, 0xbeae86e6, v156, -v120
	v_mul_f32_e32 v120, 0x3d64c772, v154
	v_fmac_f32_e32 v148, 0x3ee1c552, v158
	s_delay_alu instid0(VALU_DEP_3) | instskip(NEXT) | instid1(VALU_DEP_3)
	v_fmac_f32_e32 v149, 0x3ee1c552, v158
	v_fma_f32 v120, 0x3f3bfb3b, v99, -v120
	v_fma_f32 v99, 0xbf3bfb3b, v99, -v161
	s_delay_alu instid0(VALU_DEP_3) | instskip(NEXT) | instid1(VALU_DEP_3)
	v_add_f32_e32 v98, v149, v150
	v_add_f32_e32 v152, v120, v164
	v_sub_f32_e32 v120, v145, v148
	s_delay_alu instid0(VALU_DEP_2) | instskip(SKIP_1) | instid1(VALU_DEP_1)
	v_add_f32_e32 v121, v146, v152
	v_add_f32_e32 v151, v99, v164
	v_sub_f32_e32 v99, v151, v147
	ds_store_2addr_b64 v255, v[98:99], v[120:121] offset0:112 offset1:168
	v_add_f32_e32 v98, v148, v145
	v_dual_sub_f32 v99, v152, v146 :: v_dual_sub_f32 v120, v150, v149
	v_add_f32_e32 v121, v147, v151
	ds_store_2addr_b64 v127, v[98:99], v[120:121] offset0:96 offset1:152
	v_dual_sub_f32 v98, v167, v166 :: v_dual_add_f32 v99, v165, v168
	v_dual_fmamk_f32 v121, v133, 0xbf955555, v97 :: v_dual_fmamk_f32 v120, v132, 0xbf955555, v96
	ds_store_2addr_b64 v144, v[98:99], v[96:97] offset0:80 offset1:136
	v_sub_f32_e32 v97, v113, v110
	v_dual_sub_f32 v98, v105, v116 :: v_dual_sub_f32 v99, v104, v117
	v_sub_f32_e32 v113, v131, v130
	v_sub_f32_e32 v104, v107, v114
	v_dual_sub_f32 v96, v111, v109 :: v_dual_sub_f32 v105, v108, v115
	v_sub_f32_e32 v111, v125, v131
	v_sub_f32_e32 v107, v123, v122
	s_delay_alu instid0(VALU_DEP_4)
	v_add_f32_e32 v114, v104, v98
	v_sub_f32_e32 v115, v104, v98
	v_sub_f32_e32 v104, v96, v104
	;; [unrolled: 1-line block ×4, first 2 shown]
	v_add_f32_e32 v114, v114, v96
	v_add_f32_e32 v96, v105, v99
	v_dual_sub_f32 v108, v122, v124 :: v_dual_sub_f32 v105, v97, v105
	v_sub_f32_e32 v117, v99, v97
	v_sub_f32_e32 v109, v124, v123
	s_delay_alu instid0(VALU_DEP_4)
	v_dual_add_f32 v122, v96, v97 :: v_dual_mul_f32 v97, 0x3f4a47b2, v111
	v_mul_f32_e32 v111, 0xbf08b237, v98
	v_mul_f32_e32 v98, 0x3f5ff5aa, v116
	v_mul_f32_e32 v96, 0x3f4a47b2, v108
	v_mul_f32_e32 v108, 0xbf08b237, v115
	v_fmamk_f32 v99, v113, 0x3d64c772, v97
	s_delay_alu instid0(VALU_DEP_4) | instskip(SKIP_1) | instid1(VALU_DEP_2)
	v_fma_f32 v115, 0xbeae86e6, v104, -v98
	v_mul_f32_e32 v98, 0x3f5ff5aa, v117
	v_fmac_f32_e32 v115, 0x3ee1c552, v114
	s_delay_alu instid0(VALU_DEP_2)
	v_fma_f32 v123, 0xbeae86e6, v105, -v98
	v_sub_f32_e32 v110, v130, v125
	v_add_f32_e32 v125, v99, v121
	v_fmamk_f32 v105, v105, 0x3eae86e6, v111
	v_fmamk_f32 v98, v109, 0x3d64c772, v96
	v_fmac_f32_e32 v123, 0x3ee1c552, v122
	v_fma_f32 v97, 0xbf3bfb3b, v110, -v97
	v_fma_f32 v96, 0xbf3bfb3b, v107, -v96
	s_delay_alu instid0(VALU_DEP_2) | instskip(NEXT) | instid1(VALU_DEP_1)
	v_dual_add_f32 v124, v98, v120 :: v_dual_add_f32 v131, v97, v121
	v_dual_add_f32 v130, v96, v120 :: v_dual_sub_f32 v99, v131, v115
	v_fmamk_f32 v104, v104, 0x3eae86e6, v108
	s_delay_alu instid0(VALU_DEP_2) | instskip(NEXT) | instid1(VALU_DEP_2)
	v_add_f32_e32 v98, v123, v130
	v_fmac_f32_e32 v104, 0x3ee1c552, v114
	s_delay_alu instid0(VALU_DEP_1) | instskip(SKIP_1) | instid1(VALU_DEP_1)
	v_sub_f32_e32 v97, v125, v104
	v_fmac_f32_e32 v105, 0x3ee1c552, v122
	v_add_f32_e32 v96, v105, v124
	ds_store_2addr_b64 v144, v[96:97], v[98:99] offset0:192 offset1:248
	v_mul_f32_e32 v96, 0x3d64c772, v109
	v_mul_f32_e32 v97, 0x3d64c772, v113
	v_fma_f32 v99, 0x3f5ff5aa, v116, -v108
	v_fma_f32 v98, 0x3f5ff5aa, v117, -v111
	s_delay_alu instid0(VALU_DEP_4) | instskip(NEXT) | instid1(VALU_DEP_4)
	v_fma_f32 v96, 0x3f3bfb3b, v107, -v96
	v_fma_f32 v97, 0x3f3bfb3b, v110, -v97
	s_delay_alu instid0(VALU_DEP_4) | instskip(NEXT) | instid1(VALU_DEP_3)
	v_fmac_f32_e32 v99, 0x3ee1c552, v114
	v_dual_fmac_f32 v98, 0x3ee1c552, v122 :: v_dual_add_f32 v107, v96, v120
	s_delay_alu instid0(VALU_DEP_3) | instskip(NEXT) | instid1(VALU_DEP_2)
	v_add_f32_e32 v108, v97, v121
	v_sub_f32_e32 v96, v107, v98
	s_delay_alu instid0(VALU_DEP_2)
	v_dual_add_f32 v97, v99, v108 :: v_dual_add_f32 v98, v98, v107
	v_sub_f32_e32 v99, v108, v99
	ds_store_2addr_b64 v126, v[96:97], v[98:99] offset0:48 offset1:104
	v_sub_f32_e32 v96, v130, v123
	v_dual_add_f32 v97, v115, v131 :: v_dual_sub_f32 v98, v124, v105
	v_dual_add_f32 v99, v104, v125 :: v_dual_lshlrev_b32 v124, 3, v118
	ds_store_2addr_b64 v126, v[96:97], v[98:99] offset0:160 offset1:216
	v_mul_f32_e32 v96, v85, v31
	v_add_nc_u32_e32 v118, 0x1800, v124
	s_delay_alu instid0(VALU_DEP_2) | instskip(NEXT) | instid1(VALU_DEP_1)
	v_fma_f32 v96, v84, v30, -v96
	v_dual_mul_f32 v84, v84, v31 :: v_dual_add_f32 v97, v139, v96
	s_delay_alu instid0(VALU_DEP_1) | instskip(NEXT) | instid1(VALU_DEP_1)
	v_fmac_f32_e32 v84, v85, v30
	v_add_f32_e32 v98, v137, v84
	v_sub_f32_e32 v99, v137, v84
	v_mul_f32_e32 v84, v93, v27
	s_delay_alu instid0(VALU_DEP_1) | instskip(NEXT) | instid1(VALU_DEP_1)
	v_fma_f32 v84, v92, v26, -v84
	v_add_f32_e32 v104, v84, v141
	v_sub_f32_e32 v105, v84, v141
	v_mul_f32_e32 v84, v92, v27
	s_delay_alu instid0(VALU_DEP_1) | instskip(NEXT) | instid1(VALU_DEP_1)
	v_dual_add_f32 v107, v104, v97 :: v_dual_fmac_f32 v84, v93, v26
	v_sub_f32_e32 v93, v84, v140
	v_add_f32_e32 v92, v84, v140
	v_mul_f32_e32 v84, v89, v35
	s_delay_alu instid0(VALU_DEP_1) | instskip(SKIP_1) | instid1(VALU_DEP_1)
	v_fma_f32 v84, v88, v34, -v84
	v_mul_f32_e32 v88, v88, v35
	v_dual_add_f32 v85, v136, v84 :: v_dual_fmac_f32 v88, v89, v34
	s_delay_alu instid0(VALU_DEP_1) | instskip(NEXT) | instid1(VALU_DEP_2)
	v_dual_sub_f32 v84, v84, v136 :: v_dual_add_f32 v107, v85, v107
	v_add_f32_e32 v89, v135, v88
	v_dual_sub_f32 v109, v85, v104 :: v_dual_sub_f32 v88, v88, v135
	v_sub_f32_e32 v96, v139, v96
	s_delay_alu instid0(VALU_DEP_4) | instskip(SKIP_3) | instid1(VALU_DEP_4)
	v_add_f32_e32 v80, v80, v107
	v_add_f32_e32 v111, v84, v105
	v_sub_f32_e32 v113, v84, v105
	v_sub_f32_e32 v115, v88, v93
	v_dual_sub_f32 v114, v96, v84 :: v_dual_fmamk_f32 v107, v107, 0xbf955555, v80
	v_dual_sub_f32 v108, v97, v85 :: v_dual_add_f32 v85, v92, v98
	v_sub_f32_e32 v110, v98, v89
	v_add_f32_e32 v84, v88, v93
	v_mul_f32_e32 v113, 0xbf08b237, v113
	s_delay_alu instid0(VALU_DEP_4) | instskip(NEXT) | instid1(VALU_DEP_3)
	v_dual_mul_f32 v108, 0x3f4a47b2, v108 :: v_dual_add_f32 v85, v89, v85
	v_dual_sub_f32 v89, v89, v92 :: v_dual_add_f32 v116, v84, v99
	v_mul_f32_e32 v110, 0x3f4a47b2, v110
	v_mul_f32_e32 v115, 0xbf08b237, v115
	s_delay_alu instid0(VALU_DEP_4) | instskip(SKIP_2) | instid1(VALU_DEP_3)
	v_add_f32_e32 v81, v81, v85
	v_dual_fmamk_f32 v84, v109, 0x3d64c772, v108 :: v_dual_add_f32 v111, v111, v96
	v_fmamk_f32 v120, v114, 0x3eae86e6, v113
	v_dual_fmamk_f32 v117, v85, 0xbf955555, v81 :: v_dual_sub_f32 v88, v99, v88
	s_delay_alu instid0(VALU_DEP_3) | instskip(SKIP_1) | instid1(VALU_DEP_4)
	v_add_f32_e32 v122, v84, v107
	v_fmamk_f32 v84, v89, 0x3d64c772, v110
	v_fmac_f32_e32 v120, 0x3ee1c552, v111
	s_delay_alu instid0(VALU_DEP_4) | instskip(NEXT) | instid1(VALU_DEP_3)
	v_fmamk_f32 v121, v88, 0x3eae86e6, v115
	v_add_f32_e32 v123, v84, v117
	s_delay_alu instid0(VALU_DEP_2) | instskip(NEXT) | instid1(VALU_DEP_1)
	v_fmac_f32_e32 v121, 0x3ee1c552, v116
	v_dual_sub_f32 v85, v123, v120 :: v_dual_add_f32 v84, v121, v122
	ds_store_2addr_b64 v118, v[80:81], v[84:85] offset0:16 offset1:72
	v_sub_f32_e32 v84, v105, v96
	v_dual_sub_f32 v85, v93, v99 :: v_dual_sub_f32 v80, v104, v97
	v_dual_sub_f32 v81, v92, v98 :: v_dual_mul_f32 v92, 0x3d64c772, v109
	s_delay_alu instid0(VALU_DEP_3) | instskip(SKIP_1) | instid1(VALU_DEP_4)
	v_fma_f32 v93, 0x3f5ff5aa, v84, -v113
	v_mul_f32_e32 v84, 0x3f5ff5aa, v84
	v_fma_f32 v97, 0x3f5ff5aa, v85, -v115
	s_delay_alu instid0(VALU_DEP_4) | instskip(SKIP_1) | instid1(VALU_DEP_4)
	v_fma_f32 v92, 0x3f3bfb3b, v80, -v92
	v_fma_f32 v80, 0xbf3bfb3b, v80, -v108
	v_fma_f32 v96, 0xbeae86e6, v114, -v84
	v_mul_f32_e32 v84, 0x3f5ff5aa, v85
	v_fmac_f32_e32 v93, 0x3ee1c552, v111
	v_dual_fmac_f32 v97, 0x3ee1c552, v116 :: v_dual_lshlrev_b32 v108, 3, v119
	s_delay_alu instid0(VALU_DEP_4) | instskip(NEXT) | instid1(VALU_DEP_4)
	v_fmac_f32_e32 v96, 0x3ee1c552, v111
	v_fma_f32 v88, 0xbeae86e6, v88, -v84
	v_dual_mul_f32 v84, 0x3d64c772, v89 :: v_dual_add_f32 v89, v92, v107
	s_delay_alu instid0(VALU_DEP_4) | instskip(NEXT) | instid1(VALU_DEP_3)
	v_dual_add_f32 v92, v80, v107 :: v_dual_add_nc_u32 v107, 0x2000, v108
	v_fmac_f32_e32 v88, 0x3ee1c552, v116
	s_delay_alu instid0(VALU_DEP_3) | instskip(SKIP_1) | instid1(VALU_DEP_3)
	v_fma_f32 v84, 0x3f3bfb3b, v81, -v84
	v_fma_f32 v81, 0xbf3bfb3b, v81, -v110
	v_add_f32_e32 v80, v88, v92
	s_delay_alu instid0(VALU_DEP_3) | instskip(NEXT) | instid1(VALU_DEP_3)
	v_add_f32_e32 v99, v84, v117
	v_add_f32_e32 v98, v81, v117
	v_sub_f32_e32 v84, v89, v97
	s_delay_alu instid0(VALU_DEP_3) | instskip(NEXT) | instid1(VALU_DEP_3)
	v_add_f32_e32 v85, v93, v99
	v_sub_f32_e32 v81, v98, v96
	ds_store_2addr_b64 v118, v[80:81], v[84:85] offset0:128 offset1:184
	v_add_f32_e32 v80, v97, v89
	v_mul_f32_e32 v89, v68, v49
	v_dual_sub_f32 v81, v99, v93 :: v_dual_sub_f32 v84, v92, v88
	v_add_f32_e32 v85, v96, v98
	s_delay_alu instid0(VALU_DEP_3)
	v_fmac_f32_e32 v89, v69, v48
	v_add_nc_u32_e32 v88, 0x1c00, v124
	ds_store_2addr_b64 v88, v[80:81], v[84:85] offset0:112 offset1:168
	v_mul_f32_e32 v88, v87, v51
	v_mul_f32_e32 v81, v94, v59
	;; [unrolled: 1-line block ×5, first 2 shown]
	v_fma_f32 v88, v86, v50, -v88
	v_dual_mul_f32 v86, v86, v51 :: v_dual_fmac_f32 v81, v95, v58
	v_fma_f32 v80, v94, v58, -v80
	v_fma_f32 v84, v90, v54, -v84
	v_fmac_f32_e32 v85, v91, v54
	s_delay_alu instid0(VALU_DEP_4) | instskip(SKIP_2) | instid1(VALU_DEP_3)
	v_dual_fmac_f32 v86, v87, v50 :: v_dual_mul_f32 v87, v77, v57
	v_add_f32_e32 v95, v81, v89
	v_sub_f32_e32 v81, v81, v89
	v_fma_f32 v87, v76, v56, -v87
	v_mul_f32_e32 v76, v76, v57
	s_delay_alu instid0(VALU_DEP_2) | instskip(NEXT) | instid1(VALU_DEP_2)
	v_add_f32_e32 v90, v87, v88
	v_fmac_f32_e32 v76, v77, v56
	s_delay_alu instid0(VALU_DEP_1) | instskip(NEXT) | instid1(VALU_DEP_1)
	v_dual_mul_f32 v77, v73, v53 :: v_dual_add_f32 v94, v76, v86
	v_fma_f32 v77, v72, v52, -v77
	v_sub_f32_e32 v76, v76, v86
	v_mul_f32_e32 v72, v72, v53
	s_delay_alu instid0(VALU_DEP_3) | instskip(NEXT) | instid1(VALU_DEP_2)
	v_add_f32_e32 v92, v77, v84
	v_fmac_f32_e32 v72, v73, v52
	v_mul_f32_e32 v73, v69, v49
	s_delay_alu instid0(VALU_DEP_2) | instskip(NEXT) | instid1(VALU_DEP_2)
	v_add_f32_e32 v96, v72, v85
	v_fma_f32 v73, v68, v48, -v73
	s_delay_alu instid0(VALU_DEP_2) | instskip(NEXT) | instid1(VALU_DEP_2)
	v_dual_sub_f32 v72, v85, v72 :: v_dual_sub_f32 v85, v96, v95
	v_add_f32_e32 v91, v80, v73
	v_sub_f32_e32 v80, v80, v73
	v_sub_f32_e32 v73, v84, v77
	;; [unrolled: 1-line block ×4, first 2 shown]
	v_dual_add_f32 v68, v91, v90 :: v_dual_sub_f32 v89, v72, v81
	s_delay_alu instid0(VALU_DEP_3) | instskip(NEXT) | instid1(VALU_DEP_3)
	v_dual_add_f32 v86, v73, v80 :: v_dual_mul_f32 v77, 0x3f4a47b2, v77
	v_mul_f32_e32 v84, 0x3f4a47b2, v84
	s_delay_alu instid0(VALU_DEP_3) | instskip(NEXT) | instid1(VALU_DEP_4)
	v_dual_add_f32 v93, v92, v68 :: v_dual_add_f32 v68, v95, v94
	v_mul_f32_e32 v89, 0xbf08b237, v89
	s_delay_alu instid0(VALU_DEP_2) | instskip(SKIP_2) | instid1(VALU_DEP_3)
	v_dual_add_f32 v97, v96, v68 :: v_dual_add_f32 v68, v82, v93
	v_sub_f32_e32 v82, v87, v88
	v_sub_f32_e32 v87, v73, v80
	v_add_f32_e32 v69, v83, v97
	s_delay_alu instid0(VALU_DEP_3) | instskip(SKIP_1) | instid1(VALU_DEP_4)
	v_dual_sub_f32 v83, v92, v91 :: v_dual_sub_f32 v88, v82, v73
	v_add_f32_e32 v73, v72, v81
	v_dual_sub_f32 v92, v76, v72 :: v_dual_mul_f32 v87, 0xbf08b237, v87
	v_fmamk_f32 v93, v93, 0xbf955555, v68
	s_delay_alu instid0(VALU_DEP_4)
	v_fmamk_f32 v72, v83, 0x3d64c772, v77
	v_add_f32_e32 v86, v86, v82
	v_add_f32_e32 v96, v73, v76
	v_fmamk_f32 v97, v97, 0xbf955555, v69
	v_fmamk_f32 v104, v92, 0x3eae86e6, v89
	v_add_f32_e32 v98, v72, v93
	v_fmamk_f32 v72, v85, 0x3d64c772, v84
	v_fmamk_f32 v105, v88, 0x3eae86e6, v87
	s_delay_alu instid0(VALU_DEP_2) | instskip(NEXT) | instid1(VALU_DEP_2)
	v_dual_fmac_f32 v104, 0x3ee1c552, v96 :: v_dual_add_f32 v99, v72, v97
	v_fmac_f32_e32 v105, 0x3ee1c552, v86
	s_delay_alu instid0(VALU_DEP_1) | instskip(SKIP_4) | instid1(VALU_DEP_3)
	v_dual_add_f32 v72, v104, v98 :: v_dual_sub_f32 v73, v99, v105
	ds_store_2addr_b64 v107, v[68:69], v[72:73] offset0:152 offset1:208
	v_dual_sub_f32 v72, v80, v82 :: v_dual_sub_f32 v73, v81, v76
	v_sub_f32_e32 v68, v91, v90
	v_mul_f32_e32 v76, 0x3d64c772, v83
	v_fma_f32 v80, 0x3f5ff5aa, v72, -v87
	v_mul_f32_e32 v72, 0x3f5ff5aa, v72
	v_fma_f32 v82, 0x3f5ff5aa, v73, -v89
	s_delay_alu instid0(VALU_DEP_4)
	v_fma_f32 v76, 0x3f3bfb3b, v68, -v76
	v_fma_f32 v68, 0xbf3bfb3b, v68, -v77
	v_mul_f32_e32 v77, 0x3d64c772, v85
	v_fma_f32 v81, 0xbeae86e6, v88, -v72
	v_mul_f32_e32 v72, 0x3f5ff5aa, v73
	v_add_f32_e32 v76, v76, v93
	v_fmac_f32_e32 v82, 0x3ee1c552, v96
	v_fmac_f32_e32 v80, 0x3ee1c552, v86
	;; [unrolled: 1-line block ×3, first 2 shown]
	v_fma_f32 v83, 0xbeae86e6, v92, -v72
	v_add_nc_u32_e32 v86, 0x2800, v108
	s_delay_alu instid0(VALU_DEP_2) | instskip(SKIP_1) | instid1(VALU_DEP_1)
	v_dual_sub_f32 v72, v76, v82 :: v_dual_fmac_f32 v83, 0x3ee1c552, v96
	v_sub_f32_e32 v69, v95, v94
	v_fma_f32 v77, 0x3f3bfb3b, v69, -v77
	v_fma_f32 v69, 0xbf3bfb3b, v69, -v84
	v_add_f32_e32 v84, v68, v93
	s_delay_alu instid0(VALU_DEP_3) | instskip(NEXT) | instid1(VALU_DEP_2)
	v_add_f32_e32 v77, v77, v97
	v_dual_add_f32 v85, v69, v97 :: v_dual_add_f32 v68, v83, v84
	s_delay_alu instid0(VALU_DEP_2) | instskip(NEXT) | instid1(VALU_DEP_2)
	v_add_f32_e32 v73, v80, v77
	v_sub_f32_e32 v69, v85, v81
	ds_store_2addr_b64 v86, v[68:69], v[72:73] offset0:8 offset1:64
	v_add_f32_e32 v68, v82, v76
	v_dual_sub_f32 v69, v77, v80 :: v_dual_sub_f32 v72, v84, v83
	v_add_f32_e32 v73, v81, v85
	ds_store_2addr_b64 v86, v[68:69], v[72:73] offset0:120 offset1:176
	v_dual_mul_f32 v72, v67, v47 :: v_dual_mul_f32 v73, v74, v41
	v_mul_f32_e32 v68, v79, v45
	v_mul_f32_e32 v69, v78, v45
	s_delay_alu instid0(VALU_DEP_3) | instskip(SKIP_1) | instid1(VALU_DEP_4)
	v_fma_f32 v72, v66, v46, -v72
	v_mul_f32_e32 v66, v66, v47
	v_fma_f32 v68, v78, v44, -v68
	s_delay_alu instid0(VALU_DEP_4) | instskip(SKIP_1) | instid1(VALU_DEP_4)
	v_fmac_f32_e32 v69, v79, v44
	v_fmac_f32_e32 v73, v75, v40
	;; [unrolled: 1-line block ×3, first 2 shown]
	v_mul_f32_e32 v67, v75, v41
	s_delay_alu instid0(VALU_DEP_1) | instskip(SKIP_1) | instid1(VALU_DEP_1)
	v_fma_f32 v67, v74, v40, -v67
	v_mul_f32_e32 v74, v63, v43
	v_fma_f32 v74, v62, v42, -v74
	v_mul_f32_e32 v62, v62, v43
	s_delay_alu instid0(VALU_DEP_2) | instskip(NEXT) | instid1(VALU_DEP_2)
	v_add_f32_e32 v76, v67, v74
	v_fmac_f32_e32 v62, v63, v42
	s_delay_alu instid0(VALU_DEP_1) | instskip(NEXT) | instid1(VALU_DEP_1)
	v_dual_mul_f32 v63, v71, v37 :: v_dual_add_f32 v80, v73, v62
	v_fma_f32 v63, v70, v36, -v63
	v_mul_f32_e32 v70, v70, v37
	s_delay_alu instid0(VALU_DEP_2) | instskip(NEXT) | instid1(VALU_DEP_2)
	v_dual_sub_f32 v62, v62, v73 :: v_dual_add_f32 v75, v72, v63
	v_dual_fmac_f32 v70, v71, v36 :: v_dual_mul_f32 v71, v65, v39
	s_delay_alu instid0(VALU_DEP_1) | instskip(NEXT) | instid1(VALU_DEP_2)
	v_add_f32_e32 v79, v66, v70
	v_fma_f32 v71, v64, v38, -v71
	v_mul_f32_e32 v64, v64, v39
	v_sub_f32_e32 v66, v66, v70
	v_sub_f32_e32 v70, v76, v75
	s_delay_alu instid0(VALU_DEP_3) | instskip(SKIP_1) | instid1(VALU_DEP_2)
	v_dual_fmac_f32 v64, v65, v38 :: v_dual_add_f32 v65, v68, v71
	v_sub_f32_e32 v68, v68, v71
	v_dual_add_f32 v78, v69, v64 :: v_dual_add_f32 v77, v75, v65
	v_dual_sub_f32 v64, v69, v64 :: v_dual_sub_f32 v69, v72, v63
	v_sub_f32_e32 v63, v74, v67
	s_delay_alu instid0(VALU_DEP_3) | instskip(NEXT) | instid1(VALU_DEP_4)
	v_add_f32_e32 v81, v79, v78
	v_add_f32_e32 v77, v76, v77
	v_sub_f32_e32 v67, v65, v76
	v_dual_sub_f32 v71, v78, v80 :: v_dual_sub_f32 v72, v80, v79
	s_delay_alu instid0(VALU_DEP_4) | instskip(NEXT) | instid1(VALU_DEP_3)
	v_add_f32_e32 v81, v80, v81
	v_dual_add_f32 v60, v60, v77 :: v_dual_mul_f32 v67, 0x3f4a47b2, v67
	v_add_f32_e32 v73, v63, v69
	v_sub_f32_e32 v74, v63, v69
	s_delay_alu instid0(VALU_DEP_4)
	v_dual_add_f32 v61, v61, v81 :: v_dual_sub_f32 v76, v68, v63
	v_add_f32_e32 v63, v62, v66
	v_sub_f32_e32 v80, v62, v66
	v_dual_sub_f32 v82, v64, v62 :: v_dual_mul_f32 v71, 0x3f4a47b2, v71
	v_fmamk_f32 v77, v77, 0xbf955555, v60
	v_fmamk_f32 v62, v70, 0x3d64c772, v67
	v_mul_f32_e32 v74, 0xbf08b237, v74
	v_mul_f32_e32 v80, 0xbf08b237, v80
	v_fmamk_f32 v81, v81, 0xbf955555, v61
	s_delay_alu instid0(VALU_DEP_4) | instskip(SKIP_1) | instid1(VALU_DEP_4)
	v_dual_add_f32 v73, v73, v68 :: v_dual_add_f32 v84, v62, v77
	v_dual_fmamk_f32 v62, v72, 0x3d64c772, v71 :: v_dual_add_f32 v83, v63, v64
	v_fmamk_f32 v86, v82, 0x3eae86e6, v80
	v_fmamk_f32 v87, v76, 0x3eae86e6, v74
	scratch_store_b32 off, v124, off offset:416 ; 4-byte Folded Spill
	v_dual_add_f32 v85, v62, v81 :: v_dual_and_b32 v62, 0xffff, v106
	v_dual_fmac_f32 v86, 0x3ee1c552, v83 :: v_dual_fmac_f32 v87, 0x3ee1c552, v73
	s_delay_alu instid0(VALU_DEP_1) | instskip(NEXT) | instid1(VALU_DEP_2)
	v_dual_add_f32 v62, v86, v84 :: v_dual_lshlrev_b32 v89, 3, v62
	v_sub_f32_e32 v63, v85, v87
	s_clause 0x1
	scratch_store_b32 off, v108, off offset:420
	scratch_store_b32 off, v89, off offset:424
	v_add_nc_u32_e32 v88, 0x3000, v89
	ds_store_2addr_b64 v88, v[60:61], v[62:63] offset0:32 offset1:88
	v_sub_f32_e32 v62, v69, v68
	v_dual_sub_f32 v60, v75, v65 :: v_dual_sub_f32 v63, v66, v64
	v_mul_f32_e32 v64, 0x3d64c772, v70
	v_sub_f32_e32 v61, v79, v78
	s_delay_alu instid0(VALU_DEP_4)
	v_fma_f32 v66, 0x3f5ff5aa, v62, -v74
	v_mul_f32_e32 v62, 0x3f5ff5aa, v62
	v_mul_f32_e32 v65, 0x3d64c772, v72
	v_fma_f32 v64, 0x3f3bfb3b, v60, -v64
	v_fma_f32 v60, 0xbf3bfb3b, v60, -v67
	;; [unrolled: 1-line block ×4, first 2 shown]
	v_mul_f32_e32 v62, 0x3f5ff5aa, v63
	v_fma_f32 v65, 0x3f3bfb3b, v61, -v65
	v_fma_f32 v61, 0xbf3bfb3b, v61, -v71
	v_add_f32_e32 v64, v64, v77
	v_add_f32_e32 v70, v60, v77
	v_fma_f32 v69, 0xbeae86e6, v82, -v62
	v_add_f32_e32 v65, v65, v81
	v_dual_add_f32 v71, v61, v81 :: v_dual_fmac_f32 v68, 0x3ee1c552, v83
	v_fmac_f32_e32 v67, 0x3ee1c552, v73
	s_delay_alu instid0(VALU_DEP_4) | instskip(NEXT) | instid1(VALU_DEP_2)
	v_dual_fmac_f32 v69, 0x3ee1c552, v83 :: v_dual_fmac_f32 v66, 0x3ee1c552, v73
	v_dual_sub_f32 v62, v64, v68 :: v_dual_sub_f32 v61, v71, v67
	s_delay_alu instid0(VALU_DEP_2)
	v_dual_add_f32 v60, v69, v70 :: v_dual_add_f32 v63, v66, v65
	ds_store_2addr_b64 v88, v[60:61], v[62:63] offset0:144 offset1:200
	v_dual_add_f32 v60, v68, v64 :: v_dual_sub_f32 v61, v65, v66
	v_dual_sub_f32 v62, v70, v69 :: v_dual_add_f32 v63, v67, v71
	v_add_nc_u32_e32 v64, 0x3800, v89
	v_dual_add_f32 v65, v87, v85 :: v_dual_lshlrev_b32 v68, 3, v103
	v_lshlrev_b32_e32 v69, 3, v102
	ds_store_2addr_b64 v64, v[60:61], v[62:63] offset1:56
	v_dual_sub_f32 v60, v122, v121 :: v_dual_add_f32 v61, v120, v123
	v_dual_sub_f32 v62, v98, v104 :: v_dual_add_f32 v63, v105, v99
	v_sub_f32_e32 v64, v84, v86
	ds_store_b64 v124, v[60:61] offset:8960
	ds_store_b64 v108, v[62:63] offset:12096
	;; [unrolled: 1-line block ×3, first 2 shown]
	global_wb scope:SCOPE_SE
	s_wait_storecnt_dscnt 0x0
	s_barrier_signal -1
	s_barrier_wait -1
	global_inv scope:SCOPE_SE
	s_clause 0x3
	global_load_b128 v[60:63], v68, s[2:3] offset:3104
	global_load_b128 v[108:111], v68, s[2:3] offset:3120
	;; [unrolled: 1-line block ×4, first 2 shown]
	ds_load_2addr_b64 v[64:67], v142 offset0:16 offset1:72
	global_load_b128 v[84:87], v186, s[2:3] offset:3104
	s_wait_loadcnt_dscnt 0x400
	v_mul_f32_e32 v70, v65, v63
	v_mul_f32_e32 v216, v64, v63
	s_wait_loadcnt 0x2
	v_mul_f32_e32 v172, v66, v99
	s_delay_alu instid0(VALU_DEP_3) | instskip(SKIP_2) | instid1(VALU_DEP_4)
	v_fma_f32 v217, v64, v62, -v70
	v_mul_f32_e32 v64, v67, v99
	v_fmac_f32_e32 v216, v65, v62
	v_fmac_f32_e32 v172, v67, v98
	s_delay_alu instid0(VALU_DEP_3)
	v_fma_f32 v174, v66, v98, -v64
	ds_load_2addr_b64 v[64:67], v138 offset0:32 offset1:88
	s_wait_dscnt 0x0
	v_mul_f32_e32 v68, v65, v111
	s_wait_loadcnt 0x1
	v_mul_f32_e32 v176, v66, v107
	v_mul_f32_e32 v218, v64, v111
	s_delay_alu instid0(VALU_DEP_3) | instskip(SKIP_1) | instid1(VALU_DEP_4)
	v_fma_f32 v219, v64, v110, -v68
	v_lshlrev_b32_e32 v68, 3, v101
	v_fmac_f32_e32 v176, v67, v106
	v_mul_f32_e32 v64, v67, v107
	v_fmac_f32_e32 v218, v65, v110
	s_clause 0x1
	global_load_b128 v[88:91], v68, s[2:3] offset:3104
	global_load_b128 v[72:75], v68, s[2:3] offset:3120
	v_fma_f32 v177, v66, v106, -v64
	ds_load_2addr_b64 v[64:67], v144 offset0:192 offset1:248
	s_wait_dscnt 0x0
	v_mul_f32_e32 v69, v65, v97
	v_mul_f32_e32 v178, v64, v97
	s_delay_alu instid0(VALU_DEP_2) | instskip(NEXT) | instid1(VALU_DEP_2)
	v_fma_f32 v179, v64, v96, -v69
	v_fmac_f32_e32 v178, v65, v96
	v_lshlrev_b32_e32 v76, 3, v100
	global_load_b128 v[100:103], v76, s[2:3] offset:3120
	s_wait_loadcnt 0x2
	v_mul_f32_e32 v64, v67, v89
	v_mul_f32_e32 v166, v66, v89
	s_delay_alu instid0(VALU_DEP_2) | instskip(NEXT) | instid1(VALU_DEP_2)
	v_fma_f32 v167, v66, v88, -v64
	v_fmac_f32_e32 v166, v67, v88
	ds_load_2addr_b64 v[64:67], v129 offset0:80 offset1:136
	s_wait_dscnt 0x0
	v_mul_f32_e32 v69, v65, v105
	v_mul_f32_e32 v180, v64, v105
	s_wait_loadcnt 0x1
	v_mul_f32_e32 v168, v66, v73
	s_delay_alu instid0(VALU_DEP_3) | instskip(SKIP_2) | instid1(VALU_DEP_4)
	v_fma_f32 v181, v64, v104, -v69
	v_mul_f32_e32 v64, v67, v73
	v_fmac_f32_e32 v180, v65, v104
	v_fmac_f32_e32 v168, v67, v72
	s_delay_alu instid0(VALU_DEP_3) | instskip(SKIP_4) | instid1(VALU_DEP_2)
	v_fma_f32 v169, v66, v72, -v64
	ds_load_2addr_b64 v[64:67], v142 offset0:128 offset1:184
	s_wait_dscnt 0x0
	v_mul_f32_e32 v68, v65, v91
	v_mul_f32_e32 v170, v64, v91
	v_fma_f32 v171, v64, v90, -v68
	global_load_b128 v[68:71], v76, s[2:3] offset:3104
	v_fmac_f32_e32 v170, v65, v90
	v_lshlrev_b32_e32 v92, 3, v112
	s_wait_loadcnt 0x0
	v_mul_f32_e32 v64, v67, v71
	v_mul_f32_e32 v158, v66, v71
	s_delay_alu instid0(VALU_DEP_2) | instskip(NEXT) | instid1(VALU_DEP_2)
	v_fma_f32 v159, v66, v70, -v64
	v_fmac_f32_e32 v158, v67, v70
	ds_load_2addr_b64 v[64:67], v138 offset0:144 offset1:200
	s_wait_dscnt 0x0
	v_mul_f32_e32 v77, v65, v75
	v_mul_f32_e32 v173, v64, v75
	;; [unrolled: 1-line block ×3, first 2 shown]
	s_delay_alu instid0(VALU_DEP_3) | instskip(NEXT) | instid1(VALU_DEP_3)
	v_fma_f32 v175, v64, v74, -v77
	v_dual_mul_f32 v64, v67, v103 :: v_dual_fmac_f32 v173, v65, v74
	s_delay_alu instid0(VALU_DEP_3) | instskip(NEXT) | instid1(VALU_DEP_2)
	v_fmac_f32_e32 v160, v67, v102
	v_fma_f32 v161, v66, v102, -v64
	ds_load_2addr_b64 v[64:67], v126 offset0:48 offset1:104
	s_wait_dscnt 0x0
	v_mul_f32_e32 v76, v65, v69
	v_mul_f32_e32 v162, v64, v69
	;; [unrolled: 1-line block ×3, first 2 shown]
	s_delay_alu instid0(VALU_DEP_3) | instskip(SKIP_1) | instid1(VALU_DEP_4)
	v_fma_f32 v163, v64, v68, -v76
	v_mul_f32_e32 v64, v67, v85
	v_fmac_f32_e32 v162, v65, v68
	s_delay_alu instid0(VALU_DEP_4) | instskip(NEXT) | instid1(VALU_DEP_3)
	v_fmac_f32_e32 v148, v67, v84
	v_fma_f32 v149, v66, v84, -v64
	ds_load_2addr_b64 v[64:67], v143 offset0:64 offset1:120
	s_wait_dscnt 0x0
	v_mul_f32_e32 v76, v65, v101
	v_mul_f32_e32 v164, v64, v101
	s_delay_alu instid0(VALU_DEP_2)
	v_fma_f32 v165, v64, v100, -v76
	global_load_b128 v[76:79], v186, s[2:3] offset:3120
	v_fmac_f32_e32 v164, v65, v100
	s_wait_loadcnt 0x0
	v_mul_f32_e32 v64, v67, v77
	v_mul_f32_e32 v152, v66, v77
	s_delay_alu instid0(VALU_DEP_2) | instskip(NEXT) | instid1(VALU_DEP_2)
	v_fma_f32 v153, v66, v76, -v64
	v_fmac_f32_e32 v152, v67, v76
	ds_load_2addr_b64 v[64:67], v128 offset0:112 offset1:168
	s_wait_dscnt 0x0
	v_mul_f32_e32 v80, v65, v87
	v_mul_f32_e32 v154, v64, v87
	s_delay_alu instid0(VALU_DEP_2)
	v_fma_f32 v155, v64, v86, -v80
	global_load_b128 v[80:83], v92, s[2:3] offset:3104
	v_fmac_f32_e32 v154, v65, v86
	s_wait_loadcnt 0x0
	v_mul_f32_e32 v64, v67, v83
	v_mul_f32_e32 v135, v66, v83
	s_delay_alu instid0(VALU_DEP_2) | instskip(NEXT) | instid1(VALU_DEP_2)
	v_fma_f32 v136, v66, v82, -v64
	v_fmac_f32_e32 v135, v67, v82
	ds_load_2addr_b64 v[64:67], v239 offset1:56
	s_wait_dscnt 0x0
	v_mul_f32_e32 v93, v65, v79
	v_mul_f32_e32 v156, v64, v79
	s_delay_alu instid0(VALU_DEP_2)
	v_fma_f32 v157, v64, v78, -v93
	global_load_b128 v[92:95], v92, s[2:3] offset:3120
	v_fmac_f32_e32 v156, v65, v78
	s_wait_loadcnt 0x0
	v_mul_f32_e32 v64, v67, v95
	v_mul_f32_e32 v139, v66, v95
	s_delay_alu instid0(VALU_DEP_2) | instskip(NEXT) | instid1(VALU_DEP_2)
	v_fma_f32 v140, v66, v94, -v64
	v_fmac_f32_e32 v139, v67, v94
	ds_load_2addr_b64 v[64:67], v126 offset0:160 offset1:216
	s_wait_dscnt 0x0
	v_mul_f32_e32 v112, v65, v81
	v_mul_f32_e32 v146, v64, v81
	s_delay_alu instid0(VALU_DEP_2)
	v_fma_f32 v147, v64, v80, -v112
	global_load_b128 v[112:115], v184, s[2:3] offset:3104
	v_fmac_f32_e32 v146, v65, v80
	s_wait_loadcnt 0x0
	v_mul_f32_e32 v64, v67, v113
	v_mul_f32_e32 v130, v66, v113
	s_delay_alu instid0(VALU_DEP_2) | instskip(NEXT) | instid1(VALU_DEP_2)
	v_fma_f32 v131, v66, v112, -v64
	v_fmac_f32_e32 v130, v67, v112
	ds_load_2addr_b64 v[64:67], v134 offset0:96 offset1:152
	s_wait_dscnt 0x0
	v_mul_f32_e32 v116, v67, v109
	v_dual_mul_f32 v145, v66, v109 :: v_dual_mul_f32 v132, v64, v115
	s_delay_alu instid0(VALU_DEP_2) | instskip(SKIP_4) | instid1(VALU_DEP_3)
	v_fma_f32 v220, v66, v108, -v116
	ds_load_2addr_b64 v[116:119], v143 offset0:176 offset1:232
	v_dual_mul_f32 v66, v65, v115 :: v_dual_fmac_f32 v145, v67, v108
	v_dual_fmac_f32 v132, v65, v114 :: v_dual_sub_f32 v121, v219, v220
	v_add_f32_e32 v124, v217, v220
	v_fma_f32 v133, v64, v114, -v66
	s_delay_alu instid0(VALU_DEP_4) | instskip(SKIP_4) | instid1(VALU_DEP_2)
	v_add_f32_e32 v125, v216, v145
	v_sub_f32_e32 v229, v217, v220
	s_wait_dscnt 0x0
	v_mul_f32_e32 v64, v117, v93
	v_mul_f32_e32 v150, v116, v93
	v_fma_f32 v151, v116, v92, -v64
	global_load_b128 v[64:67], v184, s[2:3] offset:3120
	v_fmac_f32_e32 v150, v117, v92
	s_add_nc_u64 s[2:3], s[12:13], 0x3d40
	s_wait_loadcnt 0x0
	v_mul_f32_e32 v116, v119, v65
	v_mul_f32_e32 v137, v118, v65
	s_delay_alu instid0(VALU_DEP_2) | instskip(NEXT) | instid1(VALU_DEP_2)
	v_fma_f32 v141, v118, v64, -v116
	v_fmac_f32_e32 v137, v119, v64
	ds_load_2addr_b64 v[116:119], v144 offset0:80 offset1:136
	s_wait_dscnt 0x0
	v_mul_f32_e32 v120, v119, v61
	v_mul_f32_e32 v224, v118, v61
	s_delay_alu instid0(VALU_DEP_2) | instskip(NEXT) | instid1(VALU_DEP_2)
	v_fma_f32 v222, v118, v60, -v120
	v_dual_fmac_f32 v224, v119, v60 :: v_dual_sub_f32 v119, v218, v145
	s_delay_alu instid0(VALU_DEP_2) | instskip(NEXT) | instid1(VALU_DEP_2)
	v_sub_f32_e32 v120, v222, v217
	v_sub_f32_e32 v118, v224, v216
	v_dual_sub_f32 v227, v224, v218 :: v_dual_sub_f32 v228, v222, v219
	s_delay_alu instid0(VALU_DEP_3)
	v_add_f32_e32 v221, v120, v121
	ds_load_2addr_b64 v[120:123], v255 offset1:56
	v_add_f32_e32 v223, v118, v119
	s_wait_dscnt 0x0
	v_fma_f32 v124, -0.5, v124, v120
	v_fma_f32 v125, -0.5, v125, v121
	s_delay_alu instid0(VALU_DEP_2) | instskip(NEXT) | instid1(VALU_DEP_2)
	v_fmamk_f32 v118, v227, 0x3f737871, v124
	v_fmamk_f32 v119, v228, 0xbf737871, v125
	v_fmac_f32_e32 v125, 0x3f737871, v228
	v_dual_sub_f32 v225, v216, v145 :: v_dual_fmac_f32 v124, 0xbf737871, v227
	s_delay_alu instid0(VALU_DEP_3) | instskip(NEXT) | instid1(VALU_DEP_3)
	v_fmac_f32_e32 v119, 0xbf167918, v229
	v_fmac_f32_e32 v125, 0x3f167918, v229
	s_delay_alu instid0(VALU_DEP_3) | instskip(NEXT) | instid1(VALU_DEP_3)
	v_fmac_f32_e32 v118, 0x3f167918, v225
	v_fmac_f32_e32 v119, 0x3e9e377a, v223
	s_delay_alu instid0(VALU_DEP_2) | instskip(SKIP_2) | instid1(VALU_DEP_1)
	v_dual_fmac_f32 v125, 0x3e9e377a, v223 :: v_dual_fmac_f32 v118, 0x3e9e377a, v221
	ds_store_b64 v255, v[118:119] offset:3136
	v_dual_add_f32 v119, v121, v224 :: v_dual_add_f32 v118, v120, v222
	v_dual_add_f32 v119, v119, v216 :: v_dual_add_f32 v118, v118, v217
	v_dual_sub_f32 v217, v217, v222 :: v_dual_add_f32 v222, v222, v219
	s_delay_alu instid0(VALU_DEP_2) | instskip(SKIP_1) | instid1(VALU_DEP_3)
	v_dual_add_f32 v119, v119, v145 :: v_dual_add_f32 v118, v118, v220
	v_sub_f32_e32 v145, v145, v218
	v_fma_f32 v232, -0.5, v222, v120
	s_delay_alu instid0(VALU_DEP_3) | instskip(NEXT) | instid1(VALU_DEP_4)
	v_dual_sub_f32 v220, v220, v219 :: v_dual_add_f32 v231, v119, v218
	v_dual_add_f32 v119, v224, v218 :: v_dual_add_f32 v230, v118, v219
	v_sub_f32_e32 v118, v216, v224
	s_delay_alu instid0(VALU_DEP_3) | instskip(NEXT) | instid1(VALU_DEP_3)
	v_add_f32_e32 v120, v217, v220
	v_fma_f32 v233, -0.5, v119, v121
	s_delay_alu instid0(VALU_DEP_3) | instskip(NEXT) | instid1(VALU_DEP_2)
	v_dual_add_f32 v121, v118, v145 :: v_dual_fmamk_f32 v118, v225, 0xbf737871, v232
	v_dual_fmac_f32 v232, 0x3f737871, v225 :: v_dual_fmamk_f32 v119, v229, 0x3f737871, v233
	v_fmac_f32_e32 v233, 0xbf737871, v229
	s_delay_alu instid0(VALU_DEP_3) | instskip(NEXT) | instid1(VALU_DEP_3)
	v_dual_sub_f32 v229, v179, v177 :: v_dual_fmac_f32 v118, 0x3f167918, v227
	v_dual_fmac_f32 v232, 0xbf167918, v227 :: v_dual_fmac_f32 v119, 0xbf167918, v228
	s_delay_alu instid0(VALU_DEP_3) | instskip(NEXT) | instid1(VALU_DEP_3)
	v_fmac_f32_e32 v233, 0x3f167918, v228
	v_dual_sub_f32 v145, v181, v177 :: v_dual_fmac_f32 v118, 0x3e9e377a, v120
	s_delay_alu instid0(VALU_DEP_3) | instskip(NEXT) | instid1(VALU_DEP_3)
	v_dual_fmac_f32 v232, 0x3e9e377a, v120 :: v_dual_fmac_f32 v119, 0x3e9e377a, v121
	v_fmac_f32_e32 v233, 0x3e9e377a, v121
	v_sub_f32_e32 v228, v174, v181
	ds_store_b64 v255, v[118:119] offset:6272
	ds_load_2addr_b64 v[118:121], v255 offset0:112 offset1:168
	ds_load_2addr_b64 v[216:219], v127 offset0:96 offset1:152
	v_dual_fmac_f32 v124, 0xbf167918, v225 :: v_dual_sub_f32 v225, v172, v180
	s_delay_alu instid0(VALU_DEP_1) | instskip(SKIP_4) | instid1(VALU_DEP_1)
	v_fmac_f32_e32 v124, 0x3e9e377a, v221
	ds_store_b64 v255, v[232:233] offset:9408
	ds_load_b64 v[220:221], v255 offset:15232
	ds_store_b64 v255, v[124:125] offset:12544
	v_dual_add_f32 v124, v122, v179 :: v_dual_add_f32 v125, v123, v178
	v_dual_add_f32 v124, v124, v174 :: v_dual_add_f32 v125, v125, v172
	s_delay_alu instid0(VALU_DEP_1) | instskip(NEXT) | instid1(VALU_DEP_1)
	v_dual_add_f32 v124, v124, v181 :: v_dual_add_f32 v125, v125, v180
	v_dual_add_f32 v124, v124, v177 :: v_dual_add_f32 v125, v125, v176
	ds_store_2addr_b64 v255, v[230:231], v[124:125] offset1:56
	v_add_f32_e32 v124, v174, v181
	v_add_f32_e32 v125, v179, v177
	s_delay_alu instid0(VALU_DEP_2) | instskip(NEXT) | instid1(VALU_DEP_2)
	v_fma_f32 v124, -0.5, v124, v122
	v_fma_f32 v122, -0.5, v125, v122
	v_sub_f32_e32 v125, v174, v179
	s_delay_alu instid0(VALU_DEP_1) | instskip(SKIP_3) | instid1(VALU_DEP_3)
	v_add_f32_e32 v145, v125, v145
	v_add_f32_e32 v125, v172, v180
	;; [unrolled: 1-line block ×3, first 2 shown]
	v_sub_f32_e32 v223, v180, v176
	v_fma_f32 v125, -0.5, v125, v123
	s_delay_alu instid0(VALU_DEP_3) | instskip(SKIP_1) | instid1(VALU_DEP_1)
	v_fmac_f32_e32 v123, -0.5, v222
	v_sub_f32_e32 v222, v172, v178
	v_add_f32_e32 v224, v222, v223
	v_fmamk_f32 v222, v225, 0xbf737871, v122
	s_delay_alu instid0(VALU_DEP_4) | instskip(SKIP_3) | instid1(VALU_DEP_4)
	v_dual_fmac_f32 v122, 0x3f737871, v225 :: v_dual_fmamk_f32 v223, v228, 0x3f737871, v123
	v_sub_f32_e32 v227, v178, v176
	v_fmac_f32_e32 v123, 0xbf737871, v228
	v_sub_f32_e32 v172, v178, v172
	v_dual_sub_f32 v176, v176, v180 :: v_dual_fmac_f32 v223, 0xbf167918, v229
	s_delay_alu instid0(VALU_DEP_4) | instskip(NEXT) | instid1(VALU_DEP_4)
	v_fmac_f32_e32 v122, 0xbf167918, v227
	v_dual_fmac_f32 v123, 0x3f167918, v229 :: v_dual_fmac_f32 v222, 0x3f167918, v227
	s_delay_alu instid0(VALU_DEP_3) | instskip(NEXT) | instid1(VALU_DEP_3)
	v_add_f32_e32 v172, v172, v176
	v_dual_fmac_f32 v223, 0x3e9e377a, v224 :: v_dual_fmac_f32 v122, 0x3e9e377a, v145
	s_delay_alu instid0(VALU_DEP_3)
	v_dual_fmac_f32 v123, 0x3e9e377a, v224 :: v_dual_fmac_f32 v222, 0x3e9e377a, v145
	v_dual_sub_f32 v145, v179, v174 :: v_dual_sub_f32 v174, v177, v181
	v_sub_f32_e32 v179, v167, v175
	ds_store_b64 v255, v[122:123] offset:9856
	ds_store_b64 v255, v[222:223] offset:6720
	v_fmamk_f32 v122, v227, 0x3f737871, v124
	v_dual_fmac_f32 v124, 0xbf737871, v227 :: v_dual_fmamk_f32 v123, v229, 0xbf737871, v125
	v_fmac_f32_e32 v125, 0x3f737871, v229
	s_delay_alu instid0(VALU_DEP_3) | instskip(NEXT) | instid1(VALU_DEP_3)
	v_dual_add_f32 v145, v145, v174 :: v_dual_fmac_f32 v122, 0x3f167918, v225
	v_dual_fmac_f32 v124, 0xbf167918, v225 :: v_dual_fmac_f32 v123, 0xbf167918, v228
	s_delay_alu instid0(VALU_DEP_3) | instskip(SKIP_1) | instid1(VALU_DEP_4)
	v_fmac_f32_e32 v125, 0x3f167918, v228
	v_sub_f32_e32 v174, v173, v168
	v_fmac_f32_e32 v122, 0x3e9e377a, v145
	s_delay_alu instid0(VALU_DEP_4) | instskip(NEXT) | instid1(VALU_DEP_4)
	v_dual_fmac_f32 v124, 0x3e9e377a, v145 :: v_dual_fmac_f32 v123, 0x3e9e377a, v172
	v_dual_fmac_f32 v125, 0x3e9e377a, v172 :: v_dual_sub_f32 v172, v166, v170
	v_sub_f32_e32 v178, v170, v168
	v_sub_f32_e32 v180, v171, v169
	ds_store_b64 v255, v[124:125] offset:12992
	v_sub_f32_e32 v124, v167, v171
	v_dual_sub_f32 v125, v175, v169 :: v_dual_add_f32 v172, v172, v174
	v_sub_f32_e32 v174, v166, v173
	s_delay_alu instid0(VALU_DEP_2) | instskip(SKIP_2) | instid1(VALU_DEP_1)
	v_add_f32_e32 v145, v124, v125
	v_dual_add_f32 v124, v171, v169 :: v_dual_add_f32 v125, v170, v168
	s_wait_dscnt 0x8
	v_fma_f32 v124, -0.5, v124, v118
	s_delay_alu instid0(VALU_DEP_2) | instskip(NEXT) | instid1(VALU_DEP_2)
	v_fma_f32 v125, -0.5, v125, v119
	v_fmamk_f32 v176, v174, 0x3f737871, v124
	s_delay_alu instid0(VALU_DEP_2) | instskip(SKIP_1) | instid1(VALU_DEP_3)
	v_dual_fmamk_f32 v177, v179, 0xbf737871, v125 :: v_dual_fmac_f32 v124, 0xbf737871, v174
	v_fmac_f32_e32 v125, 0x3f737871, v179
	v_fmac_f32_e32 v176, 0x3f167918, v178
	s_delay_alu instid0(VALU_DEP_3) | instskip(NEXT) | instid1(VALU_DEP_3)
	v_dual_fmac_f32 v177, 0xbf167918, v180 :: v_dual_fmac_f32 v124, 0xbf167918, v178
	v_fmac_f32_e32 v125, 0x3f167918, v180
	s_delay_alu instid0(VALU_DEP_2) | instskip(NEXT) | instid1(VALU_DEP_2)
	v_dual_fmac_f32 v176, 0x3e9e377a, v145 :: v_dual_fmac_f32 v177, 0x3e9e377a, v172
	v_dual_fmac_f32 v124, 0x3e9e377a, v145 :: v_dual_fmac_f32 v125, 0x3e9e377a, v172
	ds_store_2addr_b64 v144, v[122:123], v[176:177] offset0:192 offset1:248
	v_dual_add_f32 v122, v118, v167 :: v_dual_add_f32 v123, v119, v166
	ds_store_b64 v255, v[124:125] offset:13440
	v_dual_add_f32 v122, v122, v171 :: v_dual_add_f32 v123, v123, v170
	v_sub_f32_e32 v171, v171, v167
	v_dual_add_f32 v167, v167, v175 :: v_dual_sub_f32 v170, v170, v166
	v_add_f32_e32 v166, v166, v173
	s_delay_alu instid0(VALU_DEP_4) | instskip(NEXT) | instid1(VALU_DEP_3)
	v_dual_add_f32 v122, v122, v169 :: v_dual_add_f32 v123, v123, v168
	v_fma_f32 v118, -0.5, v167, v118
	v_sub_f32_e32 v169, v169, v175
	s_delay_alu instid0(VALU_DEP_4) | instskip(SKIP_3) | instid1(VALU_DEP_4)
	v_fma_f32 v119, -0.5, v166, v119
	v_sub_f32_e32 v168, v168, v173
	v_add_f32_e32 v122, v122, v175
	v_fmamk_f32 v166, v178, 0xbf737871, v118
	v_dual_fmac_f32 v118, 0x3f737871, v178 :: v_dual_fmamk_f32 v167, v180, 0x3f737871, v119
	v_fmac_f32_e32 v119, 0xbf737871, v180
	v_dual_add_f32 v169, v171, v169 :: v_dual_add_f32 v168, v170, v168
	s_delay_alu instid0(VALU_DEP_3) | instskip(NEXT) | instid1(VALU_DEP_3)
	v_dual_fmac_f32 v118, 0xbf167918, v174 :: v_dual_add_f32 v123, v123, v173
	v_fmac_f32_e32 v119, 0x3f167918, v179
	v_fmac_f32_e32 v167, 0xbf167918, v179
	s_delay_alu instid0(VALU_DEP_3) | instskip(NEXT) | instid1(VALU_DEP_3)
	v_dual_sub_f32 v145, v158, v164 :: v_dual_fmac_f32 v118, 0x3e9e377a, v169
	v_dual_sub_f32 v170, v163, v161 :: v_dual_fmac_f32 v119, 0x3e9e377a, v168
	s_delay_alu instid0(VALU_DEP_3) | instskip(SKIP_3) | instid1(VALU_DEP_1)
	v_fmac_f32_e32 v167, 0x3e9e377a, v168
	v_sub_f32_e32 v168, v162, v160
	ds_store_b64 v255, v[118:119] offset:10304
	v_dual_add_f32 v118, v120, v163 :: v_dual_add_f32 v119, v121, v162
	v_dual_add_f32 v118, v118, v159 :: v_dual_add_f32 v119, v119, v158
	s_delay_alu instid0(VALU_DEP_1) | instskip(NEXT) | instid1(VALU_DEP_1)
	v_dual_add_f32 v118, v118, v165 :: v_dual_add_f32 v119, v119, v164
	v_dual_add_f32 v118, v118, v161 :: v_dual_add_f32 v119, v119, v160
	ds_store_2addr_b64 v255, v[122:123], v[118:119] offset0:112 offset1:168
	v_add_f32_e32 v118, v159, v165
	v_add_f32_e32 v119, v163, v161
	v_dual_sub_f32 v122, v165, v161 :: v_dual_sub_f32 v123, v164, v160
	s_delay_alu instid0(VALU_DEP_3) | instskip(NEXT) | instid1(VALU_DEP_3)
	v_fma_f32 v118, -0.5, v118, v120
	v_fma_f32 v120, -0.5, v119, v120
	v_sub_f32_e32 v119, v159, v163
	s_delay_alu instid0(VALU_DEP_1) | instskip(SKIP_1) | instid1(VALU_DEP_2)
	v_dual_add_f32 v124, v119, v122 :: v_dual_add_f32 v119, v158, v164
	v_add_f32_e32 v122, v162, v160
	v_fma_f32 v119, -0.5, v119, v121
	s_delay_alu instid0(VALU_DEP_2) | instskip(SKIP_2) | instid1(VALU_DEP_2)
	v_fmac_f32_e32 v121, -0.5, v122
	v_fmac_f32_e32 v166, 0x3f167918, v174
	v_sub_f32_e32 v122, v158, v162
	v_fmac_f32_e32 v166, 0x3e9e377a, v169
	v_sub_f32_e32 v169, v159, v165
	s_delay_alu instid0(VALU_DEP_3) | instskip(NEXT) | instid1(VALU_DEP_2)
	v_dual_add_f32 v125, v122, v123 :: v_dual_fmamk_f32 v122, v145, 0xbf737871, v120
	v_dual_fmac_f32 v120, 0x3f737871, v145 :: v_dual_fmamk_f32 v123, v169, 0x3f737871, v121
	v_fmac_f32_e32 v121, 0xbf737871, v169
	s_delay_alu instid0(VALU_DEP_3) | instskip(NEXT) | instid1(VALU_DEP_3)
	v_fmac_f32_e32 v122, 0x3f167918, v168
	v_dual_fmac_f32 v120, 0xbf167918, v168 :: v_dual_fmac_f32 v123, 0xbf167918, v170
	s_delay_alu instid0(VALU_DEP_3) | instskip(NEXT) | instid1(VALU_DEP_3)
	v_fmac_f32_e32 v121, 0x3f167918, v170
	v_fmac_f32_e32 v122, 0x3e9e377a, v124
	s_delay_alu instid0(VALU_DEP_3) | instskip(NEXT) | instid1(VALU_DEP_4)
	v_fmac_f32_e32 v120, 0x3e9e377a, v124
	v_dual_sub_f32 v124, v162, v158 :: v_dual_fmac_f32 v123, 0x3e9e377a, v125
	s_delay_alu instid0(VALU_DEP_4)
	v_fmac_f32_e32 v121, 0x3e9e377a, v125
	v_sub_f32_e32 v125, v160, v164
	v_sub_f32_e32 v158, v154, v152
	;; [unrolled: 1-line block ×3, first 2 shown]
	ds_store_2addr_b64 v142, v[166:167], v[122:123] offset0:128 offset1:184
	ds_store_b64 v255, v[120:121] offset:10752
	v_dual_sub_f32 v122, v163, v159 :: v_dual_sub_f32 v123, v161, v165
	v_fmamk_f32 v120, v168, 0x3f737871, v118
	v_dual_fmac_f32 v118, 0xbf737871, v168 :: v_dual_fmamk_f32 v121, v170, 0xbf737871, v119
	s_delay_alu instid0(VALU_DEP_3) | instskip(SKIP_1) | instid1(VALU_DEP_3)
	v_dual_fmac_f32 v119, 0x3f737871, v170 :: v_dual_add_f32 v122, v122, v123
	v_add_f32_e32 v123, v124, v125
	v_fmac_f32_e32 v118, 0xbf167918, v145
	v_fmac_f32_e32 v120, 0x3f167918, v145
	s_delay_alu instid0(VALU_DEP_4) | instskip(SKIP_1) | instid1(VALU_DEP_4)
	v_fmac_f32_e32 v119, 0x3f167918, v169
	v_fmac_f32_e32 v121, 0xbf167918, v169
	v_dual_sub_f32 v145, v148, v156 :: v_dual_fmac_f32 v118, 0x3e9e377a, v122
	s_delay_alu instid0(VALU_DEP_3) | instskip(NEXT) | instid1(VALU_DEP_3)
	v_dual_fmac_f32 v120, 0x3e9e377a, v122 :: v_dual_fmac_f32 v119, 0x3e9e377a, v123
	v_dual_fmac_f32 v121, 0x3e9e377a, v123 :: v_dual_sub_f32 v122, v148, v154
	v_sub_f32_e32 v123, v156, v152
	v_sub_f32_e32 v159, v149, v157
	ds_store_b64 v255, v[118:119] offset:13888
	v_sub_f32_e32 v118, v149, v155
	v_sub_f32_e32 v119, v157, v153
	v_add_f32_e32 v125, v122, v123
	s_delay_alu instid0(VALU_DEP_2) | instskip(SKIP_2) | instid1(VALU_DEP_1)
	v_add_f32_e32 v124, v118, v119
	v_dual_add_f32 v118, v155, v153 :: v_dual_add_f32 v119, v154, v152
	s_wait_dscnt 0xe
	v_fma_f32 v118, -0.5, v118, v216
	s_delay_alu instid0(VALU_DEP_2) | instskip(NEXT) | instid1(VALU_DEP_2)
	v_fma_f32 v119, -0.5, v119, v217
	v_fmamk_f32 v122, v145, 0x3f737871, v118
	s_delay_alu instid0(VALU_DEP_2) | instskip(SKIP_1) | instid1(VALU_DEP_3)
	v_dual_fmamk_f32 v123, v159, 0xbf737871, v119 :: v_dual_fmac_f32 v118, 0xbf737871, v145
	v_fmac_f32_e32 v119, 0x3f737871, v159
	v_fmac_f32_e32 v122, 0x3f167918, v158
	s_delay_alu instid0(VALU_DEP_3) | instskip(NEXT) | instid1(VALU_DEP_3)
	v_dual_fmac_f32 v123, 0xbf167918, v160 :: v_dual_fmac_f32 v118, 0xbf167918, v158
	v_fmac_f32_e32 v119, 0x3f167918, v160
	s_delay_alu instid0(VALU_DEP_2) | instskip(NEXT) | instid1(VALU_DEP_2)
	v_dual_fmac_f32 v122, 0x3e9e377a, v124 :: v_dual_fmac_f32 v123, 0x3e9e377a, v125
	v_dual_fmac_f32 v118, 0x3e9e377a, v124 :: v_dual_fmac_f32 v119, 0x3e9e377a, v125
	ds_store_2addr_b64 v126, v[120:121], v[122:123] offset0:48 offset1:104
	v_dual_add_f32 v120, v216, v149 :: v_dual_add_f32 v121, v217, v148
	v_dual_add_f32 v122, v218, v147 :: v_dual_add_f32 v123, v219, v146
	ds_store_b64 v255, v[118:119] offset:14336
	v_dual_add_f32 v120, v120, v155 :: v_dual_add_f32 v121, v121, v154
	v_dual_add_f32 v122, v122, v136 :: v_dual_add_f32 v123, v123, v135
	v_add_f32_e32 v118, v136, v151
	s_delay_alu instid0(VALU_DEP_3) | instskip(NEXT) | instid1(VALU_DEP_3)
	v_dual_add_f32 v120, v120, v153 :: v_dual_add_f32 v121, v121, v152
	v_dual_add_f32 v122, v122, v151 :: v_dual_add_f32 v123, v123, v150
	s_delay_alu instid0(VALU_DEP_2) | instskip(NEXT) | instid1(VALU_DEP_3)
	v_dual_add_f32 v119, v147, v140 :: v_dual_add_f32 v120, v120, v157
	v_add_f32_e32 v121, v121, v156
	s_delay_alu instid0(VALU_DEP_3) | instskip(SKIP_1) | instid1(VALU_DEP_4)
	v_dual_add_f32 v122, v122, v140 :: v_dual_add_f32 v123, v123, v139
	v_fma_f32 v118, -0.5, v118, v218
	v_fma_f32 v218, -0.5, v119, v218
	v_sub_f32_e32 v119, v136, v147
	ds_store_2addr_b64 v127, v[120:121], v[122:123] offset0:96 offset1:152
	v_dual_add_f32 v120, v149, v157 :: v_dual_add_f32 v121, v148, v156
	v_sub_f32_e32 v122, v155, v149
	v_sub_f32_e32 v123, v153, v157
	;; [unrolled: 1-line block ×3, first 2 shown]
	s_delay_alu instid0(VALU_DEP_4) | instskip(SKIP_3) | instid1(VALU_DEP_4)
	v_fma_f32 v120, -0.5, v120, v216
	v_fma_f32 v121, -0.5, v121, v217
	v_sub_f32_e32 v148, v152, v156
	v_add_f32_e32 v152, v122, v123
	v_fmamk_f32 v122, v158, 0xbf737871, v120
	s_delay_alu instid0(VALU_DEP_4) | instskip(SKIP_2) | instid1(VALU_DEP_4)
	v_dual_fmac_f32 v120, 0x3f737871, v158 :: v_dual_fmamk_f32 v123, v160, 0x3f737871, v121
	v_fmac_f32_e32 v121, 0xbf737871, v160
	v_add_f32_e32 v148, v149, v148
	v_fmac_f32_e32 v122, 0x3f167918, v145
	s_delay_alu instid0(VALU_DEP_4) | instskip(NEXT) | instid1(VALU_DEP_4)
	v_dual_fmac_f32 v120, 0xbf167918, v145 :: v_dual_fmac_f32 v123, 0xbf167918, v159
	v_fmac_f32_e32 v121, 0x3f167918, v159
	v_sub_f32_e32 v145, v135, v150
	s_delay_alu instid0(VALU_DEP_3) | instskip(SKIP_1) | instid1(VALU_DEP_4)
	v_dual_sub_f32 v149, v136, v151 :: v_dual_fmac_f32 v120, 0x3e9e377a, v152
	v_fmac_f32_e32 v122, 0x3e9e377a, v152
	v_fmac_f32_e32 v121, 0x3e9e377a, v148
	v_dual_fmac_f32 v123, 0x3e9e377a, v148 :: v_dual_sub_f32 v148, v146, v139
	v_sub_f32_e32 v152, v147, v140
	ds_store_b64 v255, v[120:121] offset:11200
	v_dual_sub_f32 v120, v151, v140 :: v_dual_sub_f32 v121, v150, v139
	s_delay_alu instid0(VALU_DEP_1) | instskip(SKIP_1) | instid1(VALU_DEP_1)
	v_add_f32_e32 v124, v119, v120
	v_dual_add_f32 v119, v135, v150 :: v_dual_add_f32 v120, v146, v139
	v_fma_f32 v119, -0.5, v119, v219
	s_delay_alu instid0(VALU_DEP_2) | instskip(SKIP_1) | instid1(VALU_DEP_2)
	v_dual_fmac_f32 v219, -0.5, v120 :: v_dual_sub_f32 v120, v135, v146
	v_sub_f32_e32 v135, v146, v135
	v_dual_add_f32 v125, v120, v121 :: v_dual_fmamk_f32 v120, v145, 0xbf737871, v218
	s_delay_alu instid0(VALU_DEP_3) | instskip(SKIP_1) | instid1(VALU_DEP_3)
	v_dual_fmamk_f32 v121, v149, 0x3f737871, v219 :: v_dual_fmac_f32 v218, 0x3f737871, v145
	v_fmac_f32_e32 v219, 0xbf737871, v149
	v_fmac_f32_e32 v120, 0x3f167918, v148
	s_delay_alu instid0(VALU_DEP_3) | instskip(NEXT) | instid1(VALU_DEP_4)
	v_fmac_f32_e32 v121, 0xbf167918, v152
	v_fmac_f32_e32 v218, 0xbf167918, v148
	s_delay_alu instid0(VALU_DEP_4) | instskip(NEXT) | instid1(VALU_DEP_3)
	v_fmac_f32_e32 v219, 0x3f167918, v152
	v_dual_fmac_f32 v120, 0x3e9e377a, v124 :: v_dual_fmac_f32 v121, 0x3e9e377a, v125
	s_delay_alu instid0(VALU_DEP_2)
	v_dual_fmac_f32 v218, 0x3e9e377a, v124 :: v_dual_fmac_f32 v219, 0x3e9e377a, v125
	v_dual_sub_f32 v124, v147, v136 :: v_dual_sub_f32 v125, v140, v151
	ds_store_2addr_b64 v128, v[122:123], v[120:121] offset0:112 offset1:168
	s_wait_dscnt 0x11
	v_mul_f32_e32 v120, v221, v67
	v_dual_sub_f32 v136, v139, v150 :: v_dual_fmamk_f32 v121, v152, 0xbf737871, v119
	v_dual_fmac_f32 v119, 0x3f737871, v152 :: v_dual_add_f32 v124, v124, v125
	s_delay_alu instid0(VALU_DEP_3) | instskip(SKIP_4) | instid1(VALU_DEP_4)
	v_fma_f32 v122, v220, v66, -v120
	v_fmamk_f32 v120, v148, 0x3f737871, v118
	v_fmac_f32_e32 v118, 0xbf737871, v148
	v_add_f32_e32 v125, v135, v136
	v_fmac_f32_e32 v119, 0x3f167918, v149
	v_dual_mul_f32 v123, v220, v67 :: v_dual_fmac_f32 v120, 0x3f167918, v145
	s_delay_alu instid0(VALU_DEP_4) | instskip(SKIP_1) | instid1(VALU_DEP_4)
	v_fmac_f32_e32 v118, 0xbf167918, v145
	v_fmac_f32_e32 v121, 0xbf167918, v149
	;; [unrolled: 1-line block ×3, first 2 shown]
	s_delay_alu instid0(VALU_DEP_4) | instskip(NEXT) | instid1(VALU_DEP_4)
	v_dual_fmac_f32 v123, v221, v66 :: v_dual_fmac_f32 v120, 0x3e9e377a, v124
	v_dual_fmac_f32 v118, 0x3e9e377a, v124 :: v_dual_sub_f32 v139, v131, v122
	s_delay_alu instid0(VALU_DEP_4) | instskip(NEXT) | instid1(VALU_DEP_3)
	v_fmac_f32_e32 v121, 0x3e9e377a, v125
	v_dual_sub_f32 v135, v130, v123 :: v_dual_sub_f32 v136, v132, v137
	ds_store_b64 v255, v[118:119] offset:14784
	v_dual_add_f32 v118, v116, v131 :: v_dual_add_f32 v119, v117, v130
	v_sub_f32_e32 v140, v133, v141
	s_delay_alu instid0(VALU_DEP_2) | instskip(NEXT) | instid1(VALU_DEP_1)
	v_dual_add_f32 v118, v118, v133 :: v_dual_add_f32 v119, v119, v132
	v_add_f32_e32 v118, v118, v141
	s_delay_alu instid0(VALU_DEP_1) | instskip(NEXT) | instid1(VALU_DEP_1)
	v_dual_add_f32 v119, v119, v137 :: v_dual_add_f32 v118, v118, v122
	v_add_f32_e32 v119, v119, v123
	ds_store_b64 v255, v[218:219] offset:11648
	ds_store_b64 v255, v[118:119] offset:2688
	v_sub_f32_e32 v118, v131, v133
	v_sub_f32_e32 v119, v122, v141
	s_delay_alu instid0(VALU_DEP_1) | instskip(SKIP_2) | instid1(VALU_DEP_2)
	v_add_f32_e32 v124, v118, v119
	v_add_f32_e32 v118, v133, v141
	;; [unrolled: 1-line block ×3, first 2 shown]
	v_fma_f32 v218, -0.5, v118, v116
	s_delay_alu instid0(VALU_DEP_2) | instskip(SKIP_1) | instid1(VALU_DEP_1)
	v_fma_f32 v219, -0.5, v119, v117
	v_dual_sub_f32 v118, v130, v132 :: v_dual_sub_f32 v119, v123, v137
	v_dual_add_f32 v125, v118, v119 :: v_dual_fmamk_f32 v118, v135, 0x3f737871, v218
	s_delay_alu instid0(VALU_DEP_3) | instskip(SKIP_1) | instid1(VALU_DEP_3)
	v_dual_fmamk_f32 v119, v139, 0xbf737871, v219 :: v_dual_fmac_f32 v218, 0xbf737871, v135
	v_fmac_f32_e32 v219, 0x3f737871, v139
	v_fmac_f32_e32 v118, 0x3f167918, v136
	s_delay_alu instid0(VALU_DEP_3) | instskip(NEXT) | instid1(VALU_DEP_4)
	v_fmac_f32_e32 v119, 0xbf167918, v140
	v_fmac_f32_e32 v218, 0xbf167918, v136
	s_delay_alu instid0(VALU_DEP_4) | instskip(NEXT) | instid1(VALU_DEP_3)
	v_fmac_f32_e32 v219, 0x3f167918, v140
	v_dual_fmac_f32 v118, 0x3e9e377a, v124 :: v_dual_fmac_f32 v119, 0x3e9e377a, v125
	s_delay_alu instid0(VALU_DEP_2)
	v_dual_fmac_f32 v218, 0x3e9e377a, v124 :: v_dual_fmac_f32 v219, 0x3e9e377a, v125
	ds_store_2addr_b64 v126, v[120:121], v[118:119] offset0:160 offset1:216
	v_dual_add_f32 v118, v131, v122 :: v_dual_add_f32 v121, v130, v123
	v_sub_f32_e32 v119, v141, v122
	v_sub_f32_e32 v120, v132, v130
	;; [unrolled: 1-line block ×3, first 2 shown]
	s_delay_alu instid0(VALU_DEP_4) | instskip(SKIP_1) | instid1(VALU_DEP_2)
	v_fma_f32 v116, -0.5, v118, v116
	v_dual_fmac_f32 v117, -0.5, v121 :: v_dual_sub_f32 v118, v133, v131
	v_fmamk_f32 v216, v136, 0xbf737871, v116
	s_delay_alu instid0(VALU_DEP_2) | instskip(NEXT) | instid1(VALU_DEP_3)
	v_dual_fmamk_f32 v217, v140, 0x3f737871, v117 :: v_dual_fmac_f32 v116, 0x3f737871, v136
	v_dual_fmac_f32 v117, 0xbf737871, v140 :: v_dual_add_f32 v118, v118, v119
	s_delay_alu instid0(VALU_DEP_3) | instskip(NEXT) | instid1(VALU_DEP_3)
	v_dual_fmac_f32 v216, 0x3f167918, v135 :: v_dual_add_f32 v119, v120, v122
	v_fmac_f32_e32 v217, 0xbf167918, v139
	s_delay_alu instid0(VALU_DEP_4) | instskip(NEXT) | instid1(VALU_DEP_4)
	v_fmac_f32_e32 v116, 0xbf167918, v135
	v_fmac_f32_e32 v117, 0x3f167918, v139
	s_delay_alu instid0(VALU_DEP_3) | instskip(NEXT) | instid1(VALU_DEP_2)
	v_dual_fmac_f32 v216, 0x3e9e377a, v118 :: v_dual_fmac_f32 v217, 0x3e9e377a, v119
	v_dual_fmac_f32 v116, 0x3e9e377a, v118 :: v_dual_fmac_f32 v117, 0x3e9e377a, v119
	ds_store_b64 v255, v[216:217] offset:8960
	ds_store_b64 v255, v[116:117] offset:12096
	;; [unrolled: 1-line block ×3, first 2 shown]
	global_wb scope:SCOPE_SE
	s_wait_dscnt 0x0
	s_barrier_signal -1
	s_barrier_wait -1
	global_inv scope:SCOPE_SE
	scratch_load_b64 v[118:119], off, off offset:8 ; 8-byte Folded Reload
	s_wait_loadcnt 0x0
	global_load_b64 v[122:123], v[118:119], off offset:15680
	ds_load_2addr_b64 v[118:121], v255 offset1:56
	s_wait_loadcnt_dscnt 0x0
	v_mul_f32_e32 v125, v118, v123
	v_mul_f32_e32 v124, v119, v123
	s_delay_alu instid0(VALU_DEP_2) | instskip(SKIP_1) | instid1(VALU_DEP_3)
	v_fmac_f32_e32 v125, v119, v122
	v_lshlrev_b32_e32 v119, 3, v226
	v_fma_f32 v124, v118, v122, -v124
	global_load_b64 v[122:123], v119, s[2:3] offset:448
	ds_store_b64 v255, v[124:125]
	s_clause 0x7
	global_load_b64 v[124:125], v119, s[2:3] offset:3920
	global_load_b64 v[179:180], v119, s[2:3] offset:13552
	;; [unrolled: 1-line block ×8, first 2 shown]
	s_wait_loadcnt 0x8
	v_mul_f32_e32 v118, v121, v123
	v_mul_f32_e32 v131, v120, v123
	s_delay_alu instid0(VALU_DEP_2) | instskip(NEXT) | instid1(VALU_DEP_2)
	v_fma_f32 v130, v120, v122, -v118
	v_dual_fmac_f32 v131, v121, v122 :: v_dual_add_nc_u32 v118, 0xc00, v255
	ds_load_2addr_b64 v[120:123], v118 offset0:106 offset1:162
	s_wait_loadcnt_dscnt 0x700
	v_mul_f32_e32 v132, v121, v125
	v_mul_f32_e32 v133, v120, v125
	s_delay_alu instid0(VALU_DEP_2) | instskip(NEXT) | instid1(VALU_DEP_2)
	v_fma_f32 v132, v120, v124, -v132
	v_fmac_f32_e32 v133, v121, v124
	global_load_b64 v[120:121], v119, s[2:3] offset:4368
	s_wait_loadcnt 0x0
	v_mul_f32_e32 v124, v123, v121
	v_mul_f32_e32 v136, v122, v121
	s_delay_alu instid0(VALU_DEP_2)
	v_fma_f32 v135, v122, v120, -v124
	global_load_b64 v[124:125], v119, s[2:3] offset:7840
	v_fmac_f32_e32 v136, v123, v120
	ds_load_2addr_b64 v[120:123], v128 offset0:84 offset1:140
	s_wait_loadcnt_dscnt 0x0
	v_mul_f32_e32 v137, v121, v125
	v_mul_f32_e32 v140, v120, v125
	s_delay_alu instid0(VALU_DEP_2) | instskip(NEXT) | instid1(VALU_DEP_2)
	v_fma_f32 v139, v120, v124, -v137
	v_fmac_f32_e32 v140, v121, v124
	global_load_b64 v[120:121], v119, s[2:3] offset:8288
	s_wait_loadcnt 0x0
	v_mul_f32_e32 v124, v123, v121
	v_mul_f32_e32 v146, v122, v121
	s_delay_alu instid0(VALU_DEP_2)
	v_fma_f32 v145, v122, v120, -v124
	global_load_b64 v[124:125], v119, s[2:3] offset:11760
	v_fmac_f32_e32 v146, v123, v120
	;; [unrolled: 15-line block ×7, first 2 shown]
	ds_load_2addr_b64 v[120:123], v127 offset0:96 offset1:152
	s_wait_loadcnt_dscnt 0x0
	v_mul_f32_e32 v137, v121, v125
	v_mul_f32_e32 v168, v120, v125
	s_delay_alu instid0(VALU_DEP_2) | instskip(NEXT) | instid1(VALU_DEP_2)
	v_fma_f32 v167, v120, v124, -v137
	v_fmac_f32_e32 v168, v121, v124
	global_load_b64 v[120:121], v119, s[2:3] offset:2240
	s_wait_loadcnt 0x0
	v_mul_f32_e32 v124, v123, v121
	v_mul_f32_e32 v170, v122, v121
	s_delay_alu instid0(VALU_DEP_2) | instskip(NEXT) | instid1(VALU_DEP_2)
	v_fma_f32 v169, v122, v120, -v124
	v_fmac_f32_e32 v170, v123, v120
	v_add_nc_u32_e32 v120, 0x1400, v255
	ds_load_2addr_b64 v[121:124], v120 offset0:74 offset1:130
	s_wait_dscnt 0x0
	v_mul_f32_e32 v125, v122, v172
	v_mul_f32_e32 v174, v121, v172
	s_delay_alu instid0(VALU_DEP_2) | instskip(NEXT) | instid1(VALU_DEP_2)
	v_fma_f32 v173, v121, v171, -v125
	v_fmac_f32_e32 v174, v122, v171
	global_load_b64 v[121:122], v119, s[2:3] offset:6160
	s_wait_loadcnt 0x0
	v_mul_f32_e32 v125, v124, v122
	v_mul_f32_e32 v172, v123, v122
	s_delay_alu instid0(VALU_DEP_2) | instskip(NEXT) | instid1(VALU_DEP_2)
	v_fma_f32 v171, v123, v121, -v125
	v_fmac_f32_e32 v172, v124, v121
	ds_load_2addr_b64 v[121:124], v134 offset0:180 offset1:236
	s_wait_dscnt 0x0
	v_mul_f32_e32 v125, v122, v176
	v_mul_f32_e32 v178, v121, v176
	s_delay_alu instid0(VALU_DEP_2) | instskip(NEXT) | instid1(VALU_DEP_2)
	v_fma_f32 v177, v121, v175, -v125
	v_fmac_f32_e32 v178, v122, v175
	global_load_b64 v[121:122], v119, s[2:3] offset:10080
	s_wait_loadcnt 0x0
	v_mul_f32_e32 v125, v124, v122
	v_mul_f32_e32 v176, v123, v122
	s_delay_alu instid0(VALU_DEP_2) | instskip(NEXT) | instid1(VALU_DEP_2)
	v_fma_f32 v175, v123, v121, -v125
	v_fmac_f32_e32 v176, v124, v121
	;; [unrolled: 14-line block ×6, first 2 shown]
	ds_load_2addr_b64 v[121:124], v239 offset0:14 offset1:70
	s_wait_dscnt 0x0
	v_mul_f32_e32 v125, v122, v236
	v_mul_f32_e32 v238, v121, v236
	s_delay_alu instid0(VALU_DEP_2) | instskip(NEXT) | instid1(VALU_DEP_2)
	v_fma_f32 v237, v121, v235, -v125
	v_fmac_f32_e32 v238, v122, v235
	global_load_b64 v[121:122], v119, s[2:3] offset:14896
	s_wait_loadcnt 0x0
	v_mul_f32_e32 v125, v124, v122
	v_mul_f32_e32 v236, v123, v122
	s_delay_alu instid0(VALU_DEP_2) | instskip(NEXT) | instid1(VALU_DEP_2)
	v_fma_f32 v235, v123, v121, -v125
	v_dual_fmac_f32 v236, v124, v121 :: v_dual_add_nc_u32 v121, 0x2c00, v255
	ds_store_2addr_b64 v121, v[149:150], v[163:164] offset0:118 offset1:174
	ds_store_2addr_b64 v129, v[175:176], v[233:234] offset0:108 offset1:164
	v_add_nc_u32_e32 v121, 0x3400, v255
	ds_store_2addr_b64 v121, v[179:180], v[237:238] offset0:86 offset1:142
	ds_store_2addr_b64 v255, v[130:131], v[151:152] offset0:56 offset1:112
	;; [unrolled: 1-line block ×13, first 2 shown]
	ds_store_b64 v255, v[235:236] offset:14896
	s_and_saveexec_b32 s1, vcc_lo
	s_cbranch_execz .LBB0_13
; %bb.12:
	s_wait_alu 0xfffe
	v_add_co_u32 v121, s2, s2, v119
	s_wait_alu 0xf1ff
	v_add_co_ci_u32_e64 v122, null, s3, 0, s2
	s_clause 0x3
	global_load_b64 v[123:124], v[121:122], off offset:3584
	global_load_b64 v[129:130], v[121:122], off offset:7504
	;; [unrolled: 1-line block ×4, first 2 shown]
	ds_load_b64 v[135:136], v255 offset:3584
	ds_load_b64 v[139:140], v255 offset:7504
	;; [unrolled: 1-line block ×4, first 2 shown]
	s_wait_loadcnt_dscnt 0x303
	v_mul_f32_e32 v125, v135, v124
	s_wait_loadcnt_dscnt 0x202
	v_mul_f32_e32 v141, v140, v130
	s_wait_loadcnt_dscnt 0x101
	v_dual_mul_f32 v133, v139, v130 :: v_dual_mul_f32 v130, v145, v132
	v_mul_f32_e32 v119, v136, v124
	s_wait_loadcnt_dscnt 0x0
	v_dual_mul_f32 v149, v146, v132 :: v_dual_mul_f32 v150, v148, v122
	s_delay_alu instid0(VALU_DEP_3) | instskip(NEXT) | instid1(VALU_DEP_3)
	v_dual_mul_f32 v137, v147, v122 :: v_dual_fmac_f32 v130, v146, v131
	v_fma_f32 v124, v135, v123, -v119
	v_fmac_f32_e32 v125, v136, v123
	v_fma_f32 v132, v139, v129, -v141
	v_fmac_f32_e32 v133, v140, v129
	v_fma_f32 v129, v145, v131, -v149
	v_fma_f32 v136, v147, v121, -v150
	v_fmac_f32_e32 v137, v148, v121
	ds_store_b64 v255, v[124:125] offset:3584
	ds_store_b64 v255, v[132:133] offset:7504
	;; [unrolled: 1-line block ×4, first 2 shown]
.LBB0_13:
	s_wait_alu 0xfffe
	s_or_b32 exec_lo, exec_lo, s1
	global_wb scope:SCOPE_SE
	s_wait_dscnt 0x0
	s_barrier_signal -1
	s_barrier_wait -1
	global_inv scope:SCOPE_SE
	ds_load_2addr_b64 v[166:169], v118 offset0:106 offset1:162
	ds_load_2addr_b64 v[170:173], v128 offset0:84 offset1:140
	;; [unrolled: 1-line block ×14, first 2 shown]
	ds_load_2addr_b64 v[178:181], v255 offset1:56
	ds_load_2addr_b64 v[162:165], v255 offset0:112 offset1:168
	s_and_saveexec_b32 s1, vcc_lo
	s_cbranch_execz .LBB0_15
; %bb.14:
	ds_load_b64 v[216:217], v255 offset:3584
	ds_load_b64 v[116:117], v255 offset:7504
	;; [unrolled: 1-line block ×4, first 2 shown]
.LBB0_15:
	s_wait_alu 0xfffe
	s_or_b32 exec_lo, exec_lo, s1
	s_wait_dscnt 0x1
	v_dual_sub_f32 v170, v178, v170 :: v_dual_sub_f32 v171, v179, v171
	v_dual_sub_f32 v174, v166, v174 :: v_dual_sub_f32 v173, v181, v173
	s_wait_dscnt 0x0
	v_dual_sub_f32 v154, v162, v154 :: v_dual_sub_f32 v159, v151, v159
	s_delay_alu instid0(VALU_DEP_3) | instskip(NEXT) | instid1(VALU_DEP_3)
	v_fma_f32 v178, v178, 2.0, -v170
	v_fma_f32 v166, v166, 2.0, -v174
	v_dual_sub_f32 v223, v171, v174 :: v_dual_sub_f32 v172, v180, v172
	s_delay_alu instid0(VALU_DEP_4)
	v_fma_f32 v151, v151, 2.0, -v159
	global_wb scope:SCOPE_SE
	v_sub_f32_e32 v220, v178, v166
	v_sub_f32_e32 v166, v167, v175
	v_fma_f32 v175, v181, 2.0, -v173
	v_fma_f32 v230, v171, 2.0, -v223
	v_fma_f32 v174, v180, 2.0, -v172
	s_barrier_signal -1
	v_add_f32_e32 v222, v170, v166
	v_fma_f32 v166, v167, 2.0, -v166
	v_fma_f32 v167, v179, 2.0, -v171
	v_sub_f32_e32 v171, v169, v177
	v_fma_f32 v227, v178, 2.0, -v220
	s_barrier_wait -1
	global_inv scope:SCOPE_SE
	v_sub_f32_e32 v221, v167, v166
	v_fma_f32 v162, v162, 2.0, -v154
	v_dual_sub_f32 v138, v130, v138 :: v_dual_sub_f32 v155, v163, v155
	v_sub_f32_e32 v157, v165, v157
	s_delay_alu instid0(VALU_DEP_4) | instskip(SKIP_4) | instid1(VALU_DEP_4)
	v_fma_f32 v228, v167, 2.0, -v221
	v_fma_f32 v167, v169, 2.0, -v171
	v_sub_f32_e32 v135, v127, v135
	v_fma_f32 v163, v163, 2.0, -v155
	v_dual_sub_f32 v158, v150, v158 :: v_dual_sub_f32 v139, v131, v139
	v_sub_f32_e32 v167, v175, v167
	v_fma_f32 v229, v170, 2.0, -v222
	v_sub_f32_e32 v170, v168, v176
	ds_store_b128 v190, v[227:230]
	ds_store_b128 v190, v[220:223] offset:16
	v_fma_f32 v166, v168, 2.0, -v170
	v_dual_add_f32 v168, v172, v171 :: v_dual_sub_f32 v169, v173, v170
	v_fma_f32 v171, v175, 2.0, -v167
	v_fma_f32 v127, v127, 2.0, -v135
	s_delay_alu instid0(VALU_DEP_4) | instskip(NEXT) | instid1(VALU_DEP_4)
	v_sub_f32_e32 v166, v174, v166
	v_fma_f32 v172, v172, 2.0, -v168
	v_fma_f32 v173, v173, 2.0, -v169
	;; [unrolled: 1-line block ×3, first 2 shown]
	v_sub_f32_e32 v134, v126, v134
	v_fma_f32 v170, v174, 2.0, -v166
	ds_store_b128 v189, v[170:173]
	ds_store_b128 v189, v[166:169] offset:16
	v_sub_f32_e32 v167, v163, v151
	v_fma_f32 v150, v150, 2.0, -v158
	v_dual_sub_f32 v169, v155, v158 :: v_dual_add_f32 v168, v154, v159
	v_fma_f32 v159, v165, 2.0, -v157
	s_delay_alu instid0(VALU_DEP_4) | instskip(NEXT) | instid1(VALU_DEP_4)
	v_fma_f32 v171, v163, 2.0, -v167
	v_sub_f32_e32 v166, v162, v150
	s_delay_alu instid0(VALU_DEP_4)
	v_fma_f32 v173, v155, 2.0, -v169
	v_sub_f32_e32 v155, v153, v161
	v_fma_f32 v172, v154, 2.0, -v168
	v_sub_f32_e32 v154, v152, v160
	v_fma_f32 v170, v162, 2.0, -v166
	ds_store_b128 v188, v[170:173]
	ds_store_b128 v188, v[166:169] offset:16
	v_fma_f32 v151, v153, 2.0, -v155
	v_sub_f32_e32 v156, v164, v156
	v_fma_f32 v150, v152, 2.0, -v154
	v_sub_f32_e32 v153, v157, v154
	s_delay_alu instid0(VALU_DEP_4) | instskip(NEXT) | instid1(VALU_DEP_4)
	v_sub_f32_e32 v151, v159, v151
	v_fma_f32 v158, v164, 2.0, -v156
	v_add_f32_e32 v152, v156, v155
	s_delay_alu instid0(VALU_DEP_4) | instskip(NEXT) | instid1(VALU_DEP_4)
	v_fma_f32 v157, v157, 2.0, -v153
	v_fma_f32 v155, v159, 2.0, -v151
	s_delay_alu instid0(VALU_DEP_4) | instskip(NEXT) | instid1(VALU_DEP_4)
	v_sub_f32_e32 v150, v158, v150
	v_fma_f32 v156, v156, 2.0, -v152
	s_delay_alu instid0(VALU_DEP_2)
	v_fma_f32 v154, v158, 2.0, -v150
	ds_store_b128 v187, v[154:157]
	ds_store_b128 v187, v[150:153] offset:16
	v_sub_f32_e32 v151, v127, v131
	v_fma_f32 v126, v126, 2.0, -v134
	v_sub_f32_e32 v131, v129, v137
	v_fma_f32 v130, v130, 2.0, -v138
	v_dual_add_f32 v152, v134, v139 :: v_dual_sub_f32 v153, v135, v138
	v_fma_f32 v155, v127, 2.0, -v151
	s_delay_alu instid0(VALU_DEP_3) | instskip(NEXT) | instid1(VALU_DEP_3)
	v_dual_sub_f32 v127, v132, v140 :: v_dual_sub_f32 v150, v126, v130
	v_fma_f32 v156, v134, 2.0, -v152
	s_delay_alu instid0(VALU_DEP_4) | instskip(SKIP_1) | instid1(VALU_DEP_4)
	v_fma_f32 v157, v135, 2.0, -v153
	v_dual_sub_f32 v130, v128, v136 :: v_dual_sub_f32 v139, v123, v147
	v_fma_f32 v154, v126, 2.0, -v150
	v_dual_sub_f32 v126, v133, v141 :: v_dual_sub_f32 v135, v118, v142
	v_dual_sub_f32 v138, v122, v146 :: v_dual_sub_f32 v147, v125, v149
	;; [unrolled: 1-line block ×3, first 2 shown]
	v_fma_f32 v128, v128, 2.0, -v130
	v_fma_f32 v129, v129, 2.0, -v131
	;; [unrolled: 1-line block ×4, first 2 shown]
	v_sub_f32_e32 v146, v124, v148
	v_dual_sub_f32 v142, v121, v145 :: v_dual_sub_f32 v127, v131, v127
	v_fma_f32 v122, v122, 2.0, -v138
	v_fma_f32 v123, v123, 2.0, -v139
	;; [unrolled: 1-line block ×7, first 2 shown]
	v_sub_f32_e32 v125, v129, v133
	v_fma_f32 v144, v124, 2.0, -v146
	v_dual_sub_f32 v124, v128, v132 :: v_dual_sub_f32 v133, v123, v119
	s_delay_alu instid0(VALU_DEP_4) | instskip(SKIP_1) | instid1(VALU_DEP_3)
	v_dual_sub_f32 v132, v122, v118 :: v_dual_sub_f32 v141, v145, v121
	v_dual_add_f32 v126, v130, v126 :: v_dual_sub_f32 v135, v139, v135
	v_fma_f32 v137, v123, 2.0, -v133
	s_delay_alu instid0(VALU_DEP_3)
	v_fma_f32 v136, v122, 2.0, -v132
	v_dual_sub_f32 v140, v144, v120 :: v_dual_sub_f32 v121, v217, v219
	v_dual_add_f32 v142, v146, v142 :: v_dual_sub_f32 v123, v117, v215
	v_sub_f32_e32 v120, v216, v218
	v_sub_f32_e32 v122, v116, v214
	v_dual_add_f32 v134, v138, v134 :: v_dual_sub_f32 v143, v147, v143
	v_fma_f32 v128, v128, 2.0, -v124
	v_fma_f32 v129, v129, 2.0, -v125
	;; [unrolled: 1-line block ×4, first 2 shown]
	v_dual_add_f32 v118, v123, v120 :: v_dual_sub_f32 v119, v121, v122
	v_fma_f32 v138, v138, 2.0, -v134
	v_fma_f32 v139, v139, 2.0, -v135
	;; [unrolled: 1-line block ×6, first 2 shown]
	ds_store_b128 v186, v[154:157]
	ds_store_b128 v186, v[150:153] offset:16
	ds_store_b128 v183, v[128:131]
	ds_store_b128 v183, v[124:127] offset:16
	;; [unrolled: 2-line block ×4, first 2 shown]
	s_and_saveexec_b32 s1, vcc_lo
	s_cbranch_execz .LBB0_17
; %bb.16:
	v_fma_f32 v124, v217, 2.0, -v121
	v_fma_f32 v117, v117, 2.0, -v123
	;; [unrolled: 1-line block ×6, first 2 shown]
	s_delay_alu instid0(VALU_DEP_3) | instskip(NEXT) | instid1(VALU_DEP_1)
	v_dual_sub_f32 v117, v124, v117 :: v_dual_sub_f32 v116, v125, v116
	v_fma_f32 v121, v124, 2.0, -v117
	s_delay_alu instid0(VALU_DEP_2)
	v_fma_f32 v120, v125, 2.0, -v116
	ds_store_b128 v182, v[120:123]
	ds_store_b128 v182, v[116:119] offset:16
.LBB0_17:
	s_wait_alu 0xfffe
	s_or_b32 exec_lo, exec_lo, s1
	v_add_nc_u32_e32 v136, 0x3000, v255
	global_wb scope:SCOPE_SE
	s_wait_dscnt 0x0
	s_barrier_signal -1
	s_barrier_wait -1
	global_inv scope:SCOPE_SE
	ds_load_2addr_b64 v[121:124], v136 offset0:144 offset1:200
	s_wait_dscnt 0x0
	v_dual_mul_f32 v116, v11, v121 :: v_dual_add_nc_u32 v191, 0x3800, v255
	v_dual_mul_f32 v153, v11, v122 :: v_dual_add_nc_u32 v120, 0x2800, v255
	ds_load_2addr_b64 v[138:141], v191 offset1:56
	v_fma_f32 v158, v10, v122, -v116
	v_fmac_f32_e32 v153, v10, v121
	ds_load_2addr_b64 v[125:128], v120 offset0:176 offset1:232
	v_mul_f32_e32 v134, v11, v124
	v_mul_f32_e32 v117, v11, v123
	ds_load_2addr_b64 v[145:148], v120 offset0:64 offset1:120
	s_wait_dscnt 0x2
	v_mul_f32_e32 v131, v11, v139
	v_mul_f32_e32 v122, v11, v141
	s_wait_dscnt 0x1
	v_mul_f32_e32 v142, v9, v126
	s_delay_alu instid0(VALU_DEP_3)
	v_fmac_f32_e32 v131, v10, v138
	v_fma_f32 v143, v10, v124, -v117
	v_mul_f32_e32 v129, v9, v128
	v_mul_f32_e32 v116, v9, v125
	v_mul_f32_e32 v117, v9, v127
	v_fmac_f32_e32 v134, v10, v123
	v_fmac_f32_e32 v142, v8, v125
	;; [unrolled: 1-line block ×3, first 2 shown]
	v_fma_f32 v144, v8, v126, -v116
	v_fma_f32 v130, v8, v128, -v117
	ds_load_2addr_b64 v[125:128], v136 offset0:32 offset1:88
	v_mul_f32_e32 v116, v11, v138
	v_mul_f32_e32 v117, v11, v140
	s_wait_dscnt 0x1
	v_mul_f32_e32 v167, v9, v148
	s_wait_dscnt 0x0
	s_delay_alu instid0(VALU_DEP_1)
	v_dual_fmac_f32 v167, v8, v147 :: v_dual_mul_f32 v124, v9, v126
	v_fma_f32 v123, v10, v141, -v117
	v_mul_f32_e32 v117, v9, v127
	v_fma_f32 v139, v10, v139, -v116
	v_mul_f32_e32 v116, v9, v125
	v_fmac_f32_e32 v124, v8, v125
	s_delay_alu instid0(VALU_DEP_4) | instskip(NEXT) | instid1(VALU_DEP_3)
	v_fma_f32 v117, v8, v128, -v117
	v_fma_f32 v125, v8, v126, -v116
	v_mul_f32_e32 v116, v9, v128
	v_dual_mul_f32 v9, v9, v147 :: v_dual_mul_f32 v128, v7, v146
	s_delay_alu instid0(VALU_DEP_1) | instskip(NEXT) | instid1(VALU_DEP_2)
	v_fma_f32 v168, v8, v148, -v9
	v_dual_fmac_f32 v128, v6, v145 :: v_dual_add_nc_u32 v9, 0x2000, v255
	ds_load_2addr_b64 v[147:150], v9 offset0:96 offset1:152
	v_fmac_f32_e32 v116, v8, v127
	ds_load_b64 v[126:127], v255 offset:15232
	v_fmac_f32_e32 v122, v10, v140
	s_wait_dscnt 0x1
	v_mul_f32_e32 v8, v7, v147
	v_mul_f32_e32 v159, v7, v150
	;; [unrolled: 1-line block ×3, first 2 shown]
	s_wait_dscnt 0x0
	v_mul_f32_e32 v121, v11, v127
	v_mul_f32_e32 v11, v11, v126
	v_fma_f32 v170, v6, v148, -v8
	s_delay_alu instid0(VALU_DEP_3) | instskip(NEXT) | instid1(VALU_DEP_3)
	v_dual_mul_f32 v8, v7, v149 :: v_dual_fmac_f32 v121, v10, v126
	v_fma_f32 v11, v10, v127, -v11
	s_delay_alu instid0(VALU_DEP_2)
	v_fma_f32 v160, v6, v150, -v8
	v_dual_fmac_f32 v159, v6, v149 :: v_dual_add_nc_u32 v8, 0x1800, v255
	ds_load_2addr_b64 v[148:151], v8 offset0:128 offset1:184
	v_fmac_f32_e32 v169, v6, v147
	ds_load_2addr_b64 v[171:174], v8 offset0:16 offset1:72
	s_wait_dscnt 0x1
	v_mul_f32_e32 v10, v5, v148
	v_mul_f32_e32 v161, v5, v149
	s_wait_dscnt 0x0
	v_mul_f32_e32 v181, v5, v174
	s_delay_alu instid0(VALU_DEP_3) | instskip(SKIP_1) | instid1(VALU_DEP_3)
	v_fma_f32 v162, v4, v149, -v10
	v_mul_f32_e32 v149, v5, v151
	v_dual_mul_f32 v10, v5, v150 :: v_dual_fmac_f32 v181, v4, v173
	s_delay_alu instid0(VALU_DEP_2) | instskip(NEXT) | instid1(VALU_DEP_2)
	v_dual_add_f32 v232, v162, v160 :: v_dual_fmac_f32 v149, v4, v150
	v_fma_f32 v150, v4, v151, -v10
	v_add_nc_u32_e32 v10, 0x2400, v255
	ds_load_2addr_b64 v[154:157], v10 offset0:80 offset1:136
	s_wait_dscnt 0x0
	v_dual_mul_f32 v126, v7, v154 :: v_dual_fmac_f32 v161, v4, v148
	v_mul_f32_e32 v151, v7, v155
	v_mul_f32_e32 v135, v7, v157
	s_delay_alu instid0(VALU_DEP_3) | instskip(NEXT) | instid1(VALU_DEP_3)
	v_fma_f32 v152, v6, v155, -v126
	v_dual_mul_f32 v126, v7, v156 :: v_dual_fmac_f32 v151, v6, v154
	s_delay_alu instid0(VALU_DEP_3) | instskip(NEXT) | instid1(VALU_DEP_3)
	v_fmac_f32_e32 v135, v6, v156
	v_dual_mul_f32 v7, v7, v145 :: v_dual_add_f32 v240, v150, v152
	s_delay_alu instid0(VALU_DEP_3) | instskip(SKIP_2) | instid1(VALU_DEP_4)
	v_fma_f32 v138, v6, v157, -v126
	v_add_nc_u32_e32 v126, 0x1c00, v255
	v_add_f32_e32 v228, v161, v159
	v_fma_f32 v6, v6, v146, -v7
	ds_load_2addr_b64 v[154:157], v126 offset0:112 offset1:168
	s_wait_dscnt 0x0
	v_mul_f32_e32 v126, v5, v154
	v_mul_f32_e32 v140, v5, v155
	;; [unrolled: 1-line block ×3, first 2 shown]
	s_delay_alu instid0(VALU_DEP_3) | instskip(SKIP_1) | instid1(VALU_DEP_4)
	v_fma_f32 v141, v4, v155, -v126
	v_mul_f32_e32 v126, v5, v157
	v_dual_mul_f32 v5, v5, v173 :: v_dual_fmac_f32 v140, v4, v154
	s_delay_alu instid0(VALU_DEP_4) | instskip(NEXT) | instid1(VALU_DEP_4)
	v_fma_f32 v127, v4, v157, -v127
	v_add_f32_e32 v248, v141, v138
	s_delay_alu instid0(VALU_DEP_4) | instskip(NEXT) | instid1(VALU_DEP_4)
	v_fmac_f32_e32 v126, v4, v156
	v_fma_f32 v214, v4, v174, -v5
	v_add_nc_u32_e32 v4, 0x1000, v255
	v_add_f32_e32 v244, v140, v135
	v_add_f32_e32 v236, v149, v151
	;; [unrolled: 1-line block ×4, first 2 shown]
	ds_load_2addr_b64 v[145:148], v4 offset0:48 offset1:104
	s_wait_dscnt 0x0
	v_mul_f32_e32 v5, v3, v145
	v_mul_f32_e32 v215, v3, v146
	;; [unrolled: 1-line block ×3, first 2 shown]
	s_delay_alu instid0(VALU_DEP_3) | instskip(SKIP_1) | instid1(VALU_DEP_4)
	v_fma_f32 v216, v2, v146, -v5
	v_mul_f32_e32 v5, v3, v147
	v_fmac_f32_e32 v215, v2, v145
	s_delay_alu instid0(VALU_DEP_4) | instskip(NEXT) | instid1(VALU_DEP_4)
	v_fmac_f32_e32 v163, v2, v147
	v_dual_add_f32 v223, v214, v170 :: v_dual_add_f32 v222, v216, v168
	s_delay_alu instid0(VALU_DEP_4) | instskip(SKIP_1) | instid1(VALU_DEP_2)
	v_fma_f32 v164, v2, v148, -v5
	v_add_nc_u32_e32 v5, 0x800, v255
	v_add_f32_e32 v231, v164, v144
	ds_load_2addr_b64 v[145:148], v5 offset0:80 offset1:136
	ds_load_2addr_b64 v[173:176], v5 offset0:192 offset1:248
	s_wait_dscnt 0x1
	v_dual_sub_f32 v144, v164, v144 :: v_dual_mul_f32 v7, v1, v145
	v_mul_f32_e32 v165, v1, v146
	v_mul_f32_e32 v154, v1, v148
	s_wait_dscnt 0x0
	v_mul_f32_e32 v132, v1, v175
	v_fma_f32 v166, v0, v146, -v7
	v_mul_f32_e32 v7, v1, v147
	v_fmac_f32_e32 v165, v0, v145
	v_fmac_f32_e32 v154, v0, v147
	v_fma_f32 v132, v0, v176, -v132
	v_add_f32_e32 v230, v166, v143
	v_fma_f32 v155, v0, v148, -v7
	ds_load_2addr_b64 v[145:148], v4 offset0:160 offset1:216
	v_add_f32_e32 v234, v154, v131
	v_add_f32_e32 v253, v132, v11
	v_sub_f32_e32 v131, v154, v131
	v_add_f32_e32 v238, v155, v139
	v_sub_f32_e32 v11, v132, v11
	s_wait_dscnt 0x0
	v_mul_f32_e32 v7, v3, v145
	v_mul_f32_e32 v156, v3, v146
	v_add_f32_e32 v218, v215, v167
	s_delay_alu instid0(VALU_DEP_3) | instskip(NEXT) | instid1(VALU_DEP_3)
	v_fma_f32 v157, v2, v146, -v7
	v_dual_mul_f32 v7, v3, v147 :: v_dual_fmac_f32 v156, v2, v145
	v_mul_f32_e32 v145, v3, v148
	s_delay_alu instid0(VALU_DEP_2) | instskip(SKIP_1) | instid1(VALU_DEP_3)
	v_fma_f32 v146, v2, v148, -v7
	v_mul_f32_e32 v7, v1, v173
	v_fmac_f32_e32 v145, v2, v147
	v_mul_f32_e32 v147, v1, v174
	s_delay_alu instid0(VALU_DEP_3) | instskip(SKIP_2) | instid1(VALU_DEP_4)
	v_fma_f32 v148, v0, v174, -v7
	v_mul_f32_e32 v133, v3, v172
	v_mul_f32_e32 v3, v3, v171
	v_fmac_f32_e32 v147, v0, v173
	s_delay_alu instid0(VALU_DEP_4) | instskip(NEXT) | instid1(VALU_DEP_4)
	v_dual_mul_f32 v7, v1, v176 :: v_dual_add_f32 v246, v148, v123
	v_fmac_f32_e32 v133, v2, v171
	s_delay_alu instid0(VALU_DEP_4) | instskip(SKIP_1) | instid1(VALU_DEP_4)
	v_fma_f32 v3, v2, v172, -v3
	v_add_nc_u32_e32 v2, 0x400, v255
	v_dual_fmac_f32 v7, v0, v175 :: v_dual_add_f32 v242, v147, v122
	s_delay_alu instid0(VALU_DEP_3)
	v_dual_sub_f32 v123, v148, v123 :: v_dual_add_f32 v254, v3, v117
	ds_load_2addr_b64 v[171:174], v2 offset0:96 offset1:152
	v_add_f32_e32 v250, v7, v121
	v_sub_f32_e32 v121, v7, v121
	v_sub_f32_e32 v7, v133, v116
	;; [unrolled: 1-line block ×3, first 2 shown]
	v_dual_sub_f32 v117, v6, v127 :: v_dual_sub_f32 v122, v147, v122
	s_delay_alu instid0(VALU_DEP_1) | instskip(SKIP_3) | instid1(VALU_DEP_2)
	v_dual_sub_f32 v132, v7, v121 :: v_dual_sub_f32 v127, v117, v3
	s_wait_dscnt 0x0
	v_mul_f32_e32 v217, v1, v174
	v_mul_f32_e32 v1, v1, v173
	v_fmac_f32_e32 v217, v0, v173
	s_delay_alu instid0(VALU_DEP_2) | instskip(NEXT) | instid1(VALU_DEP_2)
	v_fma_f32 v1, v0, v174, -v1
	v_add_f32_e32 v0, v217, v153
	s_delay_alu instid0(VALU_DEP_2)
	v_add_f32_e32 v221, v1, v158
	v_dual_sub_f32 v1, v1, v158 :: v_dual_sub_f32 v158, v215, v167
	v_dual_sub_f32 v215, v216, v168 :: v_dual_sub_f32 v168, v170, v214
	v_add_f32_e32 v227, v163, v142
	v_add_f32_e32 v173, v218, v0
	v_dual_add_f32 v251, v133, v116 :: v_dual_sub_f32 v142, v163, v142
	s_delay_alu instid0(VALU_DEP_4)
	v_dual_sub_f32 v184, v1, v168 :: v_dual_add_f32 v183, v254, v253
	v_sub_f32_e32 v167, v169, v181
	v_add_f32_e32 v235, v156, v129
	v_sub_f32_e32 v129, v156, v129
	v_sub_f32_e32 v143, v166, v143
	v_add_f32_e32 v183, v182, v183
	v_add_f32_e32 v219, v181, v169
	v_sub_f32_e32 v153, v217, v153
	v_add_f32_e32 v137, v251, v250
	v_add_f32_e32 v216, v167, v158
	;; [unrolled: 1-line block ×4, first 2 shown]
	v_dual_add_f32 v173, v222, v221 :: v_dual_sub_f32 v170, v219, v218
	v_sub_f32_e32 v169, v0, v219
	v_sub_f32_e32 v217, v167, v158
	;; [unrolled: 1-line block ×3, first 2 shown]
	v_add_f32_e32 v167, v168, v215
	v_dual_add_f32 v225, v165, v134 :: v_dual_add_f32 v224, v223, v173
	v_dual_add_f32 v137, v252, v137 :: v_dual_sub_f32 v134, v165, v134
	v_add_f32_e32 v185, v216, v153
	s_delay_alu instid0(VALU_DEP_4) | instskip(NEXT) | instid1(VALU_DEP_4)
	v_add_f32_e32 v216, v167, v1
	v_add_f32_e32 v173, v227, v225
	v_mul_f32_e32 v169, 0x3f4a47b2, v169
	v_dual_sub_f32 v181, v221, v223 :: v_dual_sub_f32 v214, v223, v222
	v_sub_f32_e32 v223, v168, v215
	s_delay_alu instid0(VALU_DEP_4)
	v_add_f32_e32 v229, v228, v173
	v_add_f32_e32 v173, v231, v230
	v_fmamk_f32 v167, v170, 0x3d64c772, v169
	v_mul_f32_e32 v181, 0x3f4a47b2, v181
	v_mul_f32_e32 v223, 0x3f08b237, v223
	v_mul_f32_e32 v217, 0x3f08b237, v217
	v_add_f32_e32 v233, v232, v173
	ds_load_2addr_b64 v[173:176], v255 offset1:56
	v_sub_f32_e32 v0, v218, v0
	v_fmamk_f32 v188, v184, 0xbeae86e6, v223
	v_fmamk_f32 v189, v219, 0xbeae86e6, v217
	v_sub_f32_e32 v153, v158, v153
	v_dual_sub_f32 v1, v215, v1 :: v_dual_mul_f32 v158, 0x3d64c772, v170
	s_delay_alu instid0(VALU_DEP_3) | instskip(SKIP_1) | instid1(VALU_DEP_3)
	v_dual_fmac_f32 v188, 0xbee1c552, v216 :: v_dual_fmac_f32 v189, 0xbee1c552, v185
	v_add_f32_e32 v171, v171, v137
	v_fma_f32 v170, 0xbf5ff5aa, v1, -v223
	s_delay_alu instid0(VALU_DEP_4)
	v_fma_f32 v158, 0x3f3bfb3b, v0, -v158
	v_add_f32_e32 v247, v146, v125
	v_fma_f32 v0, 0xbf3bfb3b, v0, -v169
	v_fma_f32 v169, 0xbf5ff5aa, v153, -v217
	v_fmac_f32_e32 v170, 0xbee1c552, v216
	v_mul_f32_e32 v153, 0xbf5ff5aa, v153
	v_mul_f32_e32 v1, 0xbf5ff5aa, v1
	v_dual_sub_f32 v125, v146, v125 :: v_dual_sub_f32 v116, v128, v126
	s_wait_dscnt 0x0
	v_add_f32_e32 v177, v173, v220
	v_dual_add_f32 v178, v174, v224 :: v_dual_add_f32 v173, v235, v234
	v_fmac_f32_e32 v169, 0xbee1c552, v185
	s_delay_alu instid0(VALU_DEP_3) | instskip(NEXT) | instid1(VALU_DEP_3)
	v_dual_add_f32 v179, v175, v229 :: v_dual_fmamk_f32 v220, v220, 0xbf955555, v177
	v_fmamk_f32 v224, v224, 0xbf955555, v178
	s_delay_alu instid0(VALU_DEP_4)
	v_add_f32_e32 v237, v236, v173
	v_fma_f32 v153, 0x3eae86e6, v219, -v153
	v_add_f32_e32 v6, v116, v7
	v_dual_add_f32 v186, v167, v220 :: v_dual_fmamk_f32 v167, v214, 0x3d64c772, v181
	v_add_f32_e32 v158, v158, v220
	v_dual_add_f32 v243, v145, v124 :: v_dual_add_f32 v180, v176, v233
	v_fmac_f32_e32 v153, 0xbee1c552, v185
	s_delay_alu instid0(VALU_DEP_4)
	v_add_f32_e32 v187, v167, v224
	v_add_f32_e32 v239, v157, v130
	;; [unrolled: 1-line block ×3, first 2 shown]
	v_sub_f32_e32 v130, v157, v130
	v_sub_f32_e32 v124, v145, v124
	;; [unrolled: 1-line block ×3, first 2 shown]
	v_dual_add_f32 v173, v239, v238 :: v_dual_sub_f32 v126, v116, v7
	v_add_f32_e32 v7, v117, v3
	v_dual_sub_f32 v133, v252, v251 :: v_dual_sub_f32 v116, v121, v116
	s_delay_alu instid0(VALU_DEP_3) | instskip(SKIP_2) | instid1(VALU_DEP_2)
	v_add_f32_e32 v241, v240, v173
	v_add_f32_e32 v173, v243, v242
	v_sub_f32_e32 v3, v3, v11
	v_dual_sub_f32 v128, v251, v250 :: v_dual_add_f32 v245, v244, v173
	v_add_f32_e32 v173, v247, v246
	s_delay_alu instid0(VALU_DEP_1)
	v_add_f32_e32 v249, v248, v173
	ds_load_2addr_b64 v[173:176], v255 offset0:112 offset1:168
	global_wb scope:SCOPE_SE
	s_wait_dscnt 0x0
	s_barrier_signal -1
	s_barrier_wait -1
	global_inv scope:SCOPE_SE
	scratch_load_b32 v190, off, off offset:340 th:TH_LOAD_LU ; 4-byte Folded Reload
	v_add_f32_e32 v173, v173, v237
	s_wait_loadcnt 0x0
	ds_store_2addr_b64 v190, v[177:178], v[167:168] offset1:4
	v_dual_sub_f32 v167, v222, v221 :: v_dual_mul_f32 v168, 0x3d64c772, v214
	v_fma_f32 v177, 0x3eae86e6, v184, -v1
	v_add_f32_e32 v178, v0, v220
	v_add_f32_e32 v174, v174, v241
	s_delay_alu instid0(VALU_DEP_4) | instskip(SKIP_2) | instid1(VALU_DEP_3)
	v_fma_f32 v168, 0x3f3bfb3b, v167, -v168
	v_fma_f32 v167, 0xbf3bfb3b, v167, -v181
	v_fmac_f32_e32 v177, 0xbee1c552, v216
	v_dual_fmamk_f32 v156, v241, 0xbf955555, v174 :: v_dual_add_f32 v181, v168, v224
	s_delay_alu instid0(VALU_DEP_3) | instskip(NEXT) | instid1(VALU_DEP_3)
	v_add_f32_e32 v184, v167, v224
	v_add_f32_e32 v0, v177, v178
	v_sub_f32_e32 v167, v158, v170
	v_add_f32_e32 v175, v175, v245
	v_add_f32_e32 v168, v169, v181
	v_sub_f32_e32 v1, v184, v153
	v_add_f32_e32 v176, v176, v249
	ds_store_2addr_b64 v190, v[0:1], v[167:168] offset0:8 offset1:12
	v_sub_f32_e32 v1, v181, v169
	scratch_load_b32 v181, off, off offset:336 th:TH_LOAD_LU ; 4-byte Folded Reload
	v_add_f32_e32 v0, v170, v158
	v_dual_sub_f32 v167, v178, v177 :: v_dual_add_f32 v168, v153, v184
	v_dual_sub_f32 v153, v225, v228 :: v_dual_sub_f32 v158, v228, v227
	ds_store_2addr_b64 v190, v[0:1], v[167:168] offset0:16 offset1:20
	v_dual_sub_f32 v0, v186, v188 :: v_dual_add_f32 v1, v189, v187
	v_mul_f32_e32 v153, 0x3f4a47b2, v153
	v_fmamk_f32 v167, v229, 0xbf955555, v179
	v_fmamk_f32 v168, v233, 0xbf955555, v180
	ds_store_b64 v190, v[0:1] offset:192
	v_dual_sub_f32 v0, v159, v161 :: v_dual_sub_f32 v1, v160, v162
	v_dual_sub_f32 v159, v230, v232 :: v_dual_sub_f32 v160, v232, v231
	v_fmamk_f32 v137, v137, 0xbf955555, v171
	s_delay_alu instid0(VALU_DEP_3) | instskip(SKIP_4) | instid1(VALU_DEP_4)
	v_add_f32_e32 v161, v0, v142
	v_dual_sub_f32 v162, v0, v142 :: v_dual_sub_f32 v163, v134, v0
	v_add_f32_e32 v0, v1, v144
	v_dual_sub_f32 v164, v1, v144 :: v_dual_sub_f32 v165, v143, v1
	v_mul_f32_e32 v159, 0x3f4a47b2, v159
	v_mul_f32_e32 v162, 0x3f08b237, v162
	s_delay_alu instid0(VALU_DEP_4) | instskip(NEXT) | instid1(VALU_DEP_4)
	v_add_f32_e32 v166, v0, v143
	v_mul_f32_e32 v164, 0x3f08b237, v164
	v_dual_fmamk_f32 v0, v158, 0x3d64c772, v153 :: v_dual_add_f32 v161, v161, v134
	s_delay_alu instid0(VALU_DEP_4) | instskip(NEXT) | instid1(VALU_DEP_3)
	v_fmamk_f32 v178, v163, 0xbeae86e6, v162
	v_dual_sub_f32 v134, v142, v134 :: v_dual_fmamk_f32 v177, v165, 0xbeae86e6, v164
	s_delay_alu instid0(VALU_DEP_3) | instskip(SKIP_1) | instid1(VALU_DEP_4)
	v_add_f32_e32 v169, v0, v167
	v_fmamk_f32 v0, v160, 0x3d64c772, v159
	v_fmac_f32_e32 v178, 0xbee1c552, v161
	s_delay_alu instid0(VALU_DEP_4) | instskip(NEXT) | instid1(VALU_DEP_3)
	v_dual_sub_f32 v142, v144, v143 :: v_dual_fmac_f32 v177, 0xbee1c552, v166
	v_dual_mul_f32 v143, 0x3d64c772, v158 :: v_dual_add_f32 v170, v0, v168
	v_mul_f32_e32 v144, 0x3d64c772, v160
	s_delay_alu instid0(VALU_DEP_3) | instskip(NEXT) | instid1(VALU_DEP_4)
	v_fma_f32 v158, 0xbf5ff5aa, v142, -v164
	v_add_f32_e32 v0, v177, v169
	v_mul_f32_e32 v142, 0xbf5ff5aa, v142
	v_sub_f32_e32 v1, v170, v178
	s_delay_alu instid0(VALU_DEP_4) | instskip(SKIP_4) | instid1(VALU_DEP_2)
	v_fmac_f32_e32 v158, 0xbee1c552, v166
	s_wait_loadcnt 0x0
	ds_store_2addr_b64 v181, v[179:180], v[0:1] offset1:4
	v_sub_f32_e32 v0, v227, v225
	v_sub_f32_e32 v1, v231, v230
	v_fma_f32 v143, 0x3f3bfb3b, v0, -v143
	v_fma_f32 v0, 0xbf3bfb3b, v0, -v153
	;; [unrolled: 1-line block ×3, first 2 shown]
	v_mul_f32_e32 v134, 0xbf5ff5aa, v134
	v_fma_f32 v144, 0x3f3bfb3b, v1, -v144
	v_fma_f32 v1, 0xbf3bfb3b, v1, -v159
	;; [unrolled: 1-line block ×3, first 2 shown]
	v_fmac_f32_e32 v153, 0xbee1c552, v161
	v_fma_f32 v134, 0x3eae86e6, v163, -v134
	v_add_f32_e32 v160, v143, v167
	v_add_f32_e32 v162, v0, v167
	;; [unrolled: 1-line block ×3, first 2 shown]
	s_delay_alu instid0(VALU_DEP_4) | instskip(SKIP_4) | instid1(VALU_DEP_3)
	v_dual_add_f32 v163, v1, v168 :: v_dual_fmac_f32 v134, 0xbee1c552, v161
	scratch_load_b32 v161, off, off offset:324 th:TH_LOAD_LU ; 4-byte Folded Reload
	v_fmac_f32_e32 v159, 0xbee1c552, v166
	v_dual_sub_f32 v142, v160, v158 :: v_dual_add_f32 v143, v153, v144
	v_sub_f32_e32 v1, v163, v134
	v_add_f32_e32 v0, v159, v162
	ds_store_2addr_b64 v181, v[0:1], v[142:143] offset0:8 offset1:12
	v_dual_add_f32 v0, v158, v160 :: v_dual_sub_f32 v1, v144, v153
	v_sub_f32_e32 v142, v162, v159
	v_add_f32_e32 v143, v134, v163
	v_dual_sub_f32 v134, v155, v139 :: v_dual_sub_f32 v139, v234, v236
	v_dual_sub_f32 v144, v240, v239 :: v_dual_fmamk_f32 v155, v237, 0xbf955555, v173
	ds_store_2addr_b64 v181, v[0:1], v[142:143] offset0:16 offset1:20
	v_dual_sub_f32 v0, v169, v177 :: v_dual_add_f32 v1, v178, v170
	v_dual_sub_f32 v142, v236, v235 :: v_dual_sub_f32 v143, v238, v240
	v_mul_f32_e32 v139, 0x3f4a47b2, v139
	ds_store_b64 v181, v[0:1] offset:192
	v_dual_sub_f32 v0, v151, v149 :: v_dual_sub_f32 v1, v152, v150
	v_mul_f32_e32 v143, 0x3f4a47b2, v143
	s_delay_alu instid0(VALU_DEP_2) | instskip(SKIP_1) | instid1(VALU_DEP_4)
	v_add_f32_e32 v149, v0, v129
	v_dual_sub_f32 v150, v0, v129 :: v_dual_sub_f32 v151, v131, v0
	v_add_f32_e32 v0, v1, v130
	v_dual_sub_f32 v152, v1, v130 :: v_dual_sub_f32 v153, v134, v1
	s_delay_alu instid0(VALU_DEP_3) | instskip(NEXT) | instid1(VALU_DEP_3)
	v_dual_mul_f32 v150, 0x3f08b237, v150 :: v_dual_add_f32 v149, v149, v131
	v_add_f32_e32 v154, v0, v134
	s_delay_alu instid0(VALU_DEP_3) | instskip(SKIP_1) | instid1(VALU_DEP_4)
	v_mul_f32_e32 v152, 0x3f08b237, v152
	v_fmamk_f32 v0, v142, 0x3d64c772, v139
	v_dual_fmamk_f32 v160, v151, 0xbeae86e6, v150 :: v_dual_sub_f32 v129, v129, v131
	v_mul_f32_e32 v131, 0x3d64c772, v142
	s_delay_alu instid0(VALU_DEP_4) | instskip(NEXT) | instid1(VALU_DEP_4)
	v_fmamk_f32 v159, v153, 0xbeae86e6, v152
	v_add_f32_e32 v157, v0, v155
	v_fmamk_f32 v0, v144, 0x3d64c772, v143
	v_fmac_f32_e32 v160, 0xbee1c552, v149
	v_sub_f32_e32 v130, v130, v134
	v_fmac_f32_e32 v159, 0xbee1c552, v154
	v_mul_f32_e32 v134, 0x3d64c772, v144
	v_add_f32_e32 v158, v0, v156
	s_delay_alu instid0(VALU_DEP_1) | instskip(SKIP_4) | instid1(VALU_DEP_2)
	v_dual_add_f32 v0, v159, v157 :: v_dual_sub_f32 v1, v158, v160
	s_wait_loadcnt 0x0
	ds_store_2addr_b64 v161, v[173:174], v[0:1] offset1:4
	v_sub_f32_e32 v0, v235, v234
	v_sub_f32_e32 v1, v239, v238
	v_fma_f32 v131, 0x3f3bfb3b, v0, -v131
	v_fma_f32 v0, 0xbf3bfb3b, v0, -v139
	;; [unrolled: 1-line block ×3, first 2 shown]
	v_mul_f32_e32 v129, 0xbf5ff5aa, v129
	v_fma_f32 v134, 0x3f3bfb3b, v1, -v134
	v_fma_f32 v1, 0xbf3bfb3b, v1, -v143
	;; [unrolled: 1-line block ×3, first 2 shown]
	v_add_f32_e32 v131, v131, v155
	v_fma_f32 v142, 0x3eae86e6, v151, -v129
	v_dual_mul_f32 v129, 0xbf5ff5aa, v130 :: v_dual_add_f32 v150, v0, v155
	v_add_f32_e32 v134, v134, v156
	v_add_f32_e32 v151, v1, v156
	v_fmac_f32_e32 v143, 0xbee1c552, v154
	s_delay_alu instid0(VALU_DEP_4) | instskip(SKIP_3) | instid1(VALU_DEP_4)
	v_fma_f32 v144, 0x3eae86e6, v153, -v129
	v_fmac_f32_e32 v142, 0xbee1c552, v149
	v_fmac_f32_e32 v139, 0xbee1c552, v149
	v_sub_f32_e32 v149, v243, v242
	v_dual_sub_f32 v129, v131, v143 :: v_dual_fmac_f32 v144, 0xbee1c552, v154
	s_delay_alu instid0(VALU_DEP_4) | instskip(NEXT) | instid1(VALU_DEP_4)
	v_sub_f32_e32 v1, v151, v142
	v_add_f32_e32 v130, v139, v134
	s_delay_alu instid0(VALU_DEP_3)
	v_add_f32_e32 v0, v144, v150
	ds_store_2addr_b64 v161, v[0:1], v[129:130] offset0:8 offset1:12
	v_add_f32_e32 v130, v142, v151
	scratch_load_b32 v151, off, off offset:288 th:TH_LOAD_LU ; 4-byte Folded Reload
	v_add_f32_e32 v0, v143, v131
	v_sub_f32_e32 v1, v134, v139
	v_sub_f32_e32 v129, v150, v144
	v_dual_sub_f32 v131, v246, v248 :: v_dual_sub_f32 v134, v248, v247
	v_fmamk_f32 v143, v245, 0xbf955555, v175
	v_fmamk_f32 v144, v249, 0xbf955555, v176
	ds_store_2addr_b64 v161, v[0:1], v[129:130] offset0:16 offset1:20
	v_dual_sub_f32 v0, v157, v159 :: v_dual_add_f32 v1, v160, v158
	v_dual_sub_f32 v129, v242, v244 :: v_dual_sub_f32 v130, v244, v243
	v_dual_mul_f32 v131, 0x3f4a47b2, v131 :: v_dual_sub_f32 v150, v247, v246
	ds_store_b64 v161, v[0:1] offset:192
	v_dual_sub_f32 v0, v135, v140 :: v_dual_sub_f32 v1, v138, v141
	v_mul_f32_e32 v129, 0x3f4a47b2, v129
	s_delay_alu instid0(VALU_DEP_2) | instskip(SKIP_1) | instid1(VALU_DEP_4)
	v_add_f32_e32 v135, v0, v124
	v_sub_f32_e32 v138, v0, v124
	v_dual_sub_f32 v139, v122, v0 :: v_dual_add_f32 v0, v1, v125
	v_sub_f32_e32 v140, v1, v125
	s_delay_alu instid0(VALU_DEP_3) | instskip(NEXT) | instid1(VALU_DEP_3)
	v_dual_sub_f32 v141, v123, v1 :: v_dual_mul_f32 v138, 0x3f08b237, v138
	v_dual_add_f32 v135, v135, v122 :: v_dual_add_f32 v142, v0, v123
	s_delay_alu instid0(VALU_DEP_3) | instskip(SKIP_1) | instid1(VALU_DEP_4)
	v_mul_f32_e32 v140, 0x3f08b237, v140
	v_fmamk_f32 v0, v130, 0x3d64c772, v129
	v_dual_fmamk_f32 v148, v139, 0xbeae86e6, v138 :: v_dual_sub_f32 v125, v125, v123
	s_delay_alu instid0(VALU_DEP_3) | instskip(NEXT) | instid1(VALU_DEP_3)
	v_dual_sub_f32 v124, v124, v122 :: v_dual_fmamk_f32 v147, v141, 0xbeae86e6, v140
	v_dual_add_f32 v145, v0, v143 :: v_dual_fmamk_f32 v0, v134, 0x3d64c772, v131
	s_delay_alu instid0(VALU_DEP_3) | instskip(NEXT) | instid1(VALU_DEP_4)
	v_fmac_f32_e32 v148, 0xbee1c552, v135
	v_fma_f32 v122, 0xbf5ff5aa, v125, -v140
	s_delay_alu instid0(VALU_DEP_4) | instskip(NEXT) | instid1(VALU_DEP_4)
	v_fmac_f32_e32 v147, 0xbee1c552, v142
	v_dual_mul_f32 v125, 0xbf5ff5aa, v125 :: v_dual_add_f32 v146, v0, v144
	v_sub_f32_e32 v140, v182, v254
	s_delay_alu instid0(VALU_DEP_4) | instskip(NEXT) | instid1(VALU_DEP_4)
	v_fmac_f32_e32 v122, 0xbee1c552, v142
	v_add_f32_e32 v0, v147, v145
	v_fma_f32 v123, 0xbf5ff5aa, v124, -v138
	v_sub_f32_e32 v1, v146, v148
	v_mul_f32_e32 v138, 0x3d64c772, v140
	v_mul_f32_e32 v124, 0xbf5ff5aa, v124
	s_wait_loadcnt 0x0
	ds_store_2addr_b64 v151, v[175:176], v[0:1] offset1:4
	v_mul_f32_e32 v0, 0x3d64c772, v130
	v_mul_f32_e32 v1, 0x3d64c772, v134
	s_delay_alu instid0(VALU_DEP_2) | instskip(NEXT) | instid1(VALU_DEP_2)
	v_fma_f32 v0, 0x3f3bfb3b, v149, -v0
	v_fma_f32 v1, 0x3f3bfb3b, v150, -v1
	s_delay_alu instid0(VALU_DEP_2) | instskip(NEXT) | instid1(VALU_DEP_2)
	v_add_f32_e32 v130, v0, v143
	v_add_f32_e32 v134, v1, v144
	s_delay_alu instid0(VALU_DEP_2)
	v_sub_f32_e32 v0, v130, v122
	v_add_f32_e32 v122, v122, v130
	v_fma_f32 v130, 0xbf3bfb3b, v150, -v131
	v_fma_f32 v131, 0x3eae86e6, v141, -v125
	v_add_f32_e32 v141, v6, v121
	v_mul_f32_e32 v6, 0x3d64c772, v133
	s_delay_alu instid0(VALU_DEP_4)
	v_add_f32_e32 v130, v130, v144
	v_add_f32_e32 v144, v7, v11
	v_fma_f32 v129, 0xbf3bfb3b, v149, -v129
	v_fmac_f32_e32 v131, 0xbee1c552, v142
	v_fmamk_f32 v142, v183, 0xbf955555, v172
	v_fmac_f32_e32 v123, 0xbee1c552, v135
	v_fma_f32 v6, 0x3f3bfb3b, v128, -v6
	v_add_f32_e32 v129, v129, v143
	v_mul_f32_e32 v143, 0x3f08b237, v127
	v_sub_f32_e32 v11, v11, v117
	v_add_f32_e32 v1, v123, v134
	v_sub_f32_e32 v123, v134, v123
	v_fma_f32 v134, 0x3eae86e6, v139, -v124
	v_dual_add_f32 v124, v131, v129 :: v_dual_sub_f32 v129, v129, v131
	s_delay_alu instid0(VALU_DEP_2) | instskip(SKIP_1) | instid1(VALU_DEP_2)
	v_dual_sub_f32 v131, v254, v253 :: v_dual_fmac_f32 v134, 0xbee1c552, v135
	v_add_f32_e32 v135, v148, v146
	v_fma_f32 v138, 0x3f3bfb3b, v131, -v138
	s_delay_alu instid0(VALU_DEP_3) | instskip(SKIP_1) | instid1(VALU_DEP_3)
	v_sub_f32_e32 v125, v130, v134
	v_add_f32_e32 v130, v134, v130
	v_add_f32_e32 v127, v138, v142
	v_fma_f32 v138, 0xbf5ff5aa, v3, -v143
	v_mul_f32_e32 v3, 0xbf5ff5aa, v3
	s_delay_alu instid0(VALU_DEP_2) | instskip(SKIP_2) | instid1(VALU_DEP_4)
	v_fmac_f32_e32 v138, 0xbee1c552, v144
	v_dual_sub_f32 v134, v145, v147 :: v_dual_mul_f32 v145, 0x3f08b237, v126
	v_add_f32_e32 v126, v6, v137
	v_fma_f32 v3, 0x3eae86e6, v11, -v3
	v_fmamk_f32 v11, v11, 0xbeae86e6, v143
	s_delay_alu instid0(VALU_DEP_4) | instskip(NEXT) | instid1(VALU_DEP_4)
	v_fma_f32 v139, 0xbf5ff5aa, v132, -v145
	v_sub_f32_e32 v6, v126, v138
	v_add_f32_e32 v126, v138, v126
	v_sub_f32_e32 v138, v250, v252
	v_fmac_f32_e32 v3, 0xbee1c552, v144
	v_fmac_f32_e32 v139, 0xbee1c552, v141
	v_mul_f32_e32 v132, 0xbf5ff5aa, v132
	v_fmac_f32_e32 v11, 0xbee1c552, v144
	v_mul_f32_e32 v117, 0x3f4a47b2, v138
	s_delay_alu instid0(VALU_DEP_4) | instskip(SKIP_2) | instid1(VALU_DEP_4)
	v_add_f32_e32 v7, v139, v127
	v_sub_f32_e32 v127, v127, v139
	v_sub_f32_e32 v139, v253, v182
	v_fma_f32 v128, 0xbf3bfb3b, v128, -v117
	s_delay_alu instid0(VALU_DEP_1) | instskip(SKIP_1) | instid1(VALU_DEP_2)
	v_dual_mul_f32 v121, 0x3f4a47b2, v139 :: v_dual_add_f32 v128, v128, v137
	v_fma_f32 v139, 0x3eae86e6, v116, -v132
	v_fma_f32 v131, 0xbf3bfb3b, v131, -v121
	s_delay_alu instid0(VALU_DEP_3)
	v_sub_f32_e32 v138, v128, v3
	ds_store_2addr_b64 v151, v[124:125], v[0:1] offset0:8 offset1:12
	ds_store_2addr_b64 v151, v[122:123], v[129:130] offset0:16 offset1:20
	ds_store_b64 v151, v[134:135] offset:192
	scratch_load_b32 v0, off, off offset:284 th:TH_LOAD_LU ; 4-byte Folded Reload
	v_dual_fmac_f32 v139, 0xbee1c552, v141 :: v_dual_add_f32 v146, v131, v142
	v_add_f32_e32 v131, v3, v128
	v_fmamk_f32 v3, v133, 0x3d64c772, v117
	v_fmamk_f32 v117, v140, 0x3d64c772, v121
	s_delay_alu instid0(VALU_DEP_4) | instskip(SKIP_1) | instid1(VALU_DEP_4)
	v_dual_fmamk_f32 v121, v116, 0xbeae86e6, v145 :: v_dual_sub_f32 v132, v146, v139
	v_add_f32_e32 v139, v139, v146
	v_add_f32_e32 v3, v3, v137
	s_delay_alu instid0(VALU_DEP_4) | instskip(NEXT) | instid1(VALU_DEP_2)
	v_add_f32_e32 v117, v117, v142
	v_dual_fmac_f32 v121, 0xbee1c552, v141 :: v_dual_add_f32 v140, v11, v3
	s_delay_alu instid0(VALU_DEP_1)
	v_dual_sub_f32 v116, v3, v11 :: v_dual_sub_f32 v141, v117, v121
	v_add_f32_e32 v117, v121, v117
	s_wait_loadcnt 0x0
	ds_store_2addr_b64 v0, v[171:172], v[140:141] offset1:4
	ds_store_2addr_b64 v0, v[131:132], v[6:7] offset0:8 offset1:12
	ds_store_2addr_b64 v0, v[126:127], v[138:139] offset0:16 offset1:20
	ds_store_b64 v0, v[116:117] offset:192
	v_add_nc_u32_e32 v0, 0x2c00, v255
	global_wb scope:SCOPE_SE
	s_wait_dscnt 0x0
	s_barrier_signal -1
	s_barrier_wait -1
	global_inv scope:SCOPE_SE
	ds_load_2addr_b64 v[172:175], v9 offset0:12 offset1:68
	ds_load_2addr_b64 v[164:167], v9 offset0:124 offset1:180
	;; [unrolled: 1-line block ×15, first 2 shown]
	ds_load_2addr_b64 v[140:143], v255 offset1:56
	ds_load_2addr_b64 v[136:139], v255 offset0:112 offset1:168
	s_and_saveexec_b32 s1, s0
	s_cbranch_execz .LBB0_19
; %bb.18:
	ds_load_b64 v[116:117], v255 offset:7616
	ds_load_b64 v[118:119], v255 offset:15456
.LBB0_19:
	s_wait_alu 0xfffe
	s_or_b32 exec_lo, exec_lo, s1
	scratch_load_b64 v[177:178], off, off offset:316 th:TH_LOAD_LU ; 8-byte Folded Reload
	s_wait_loadcnt_dscnt 0x10
	v_mul_f32_e32 v176, v178, v173
	s_delay_alu instid0(VALU_DEP_1) | instskip(SKIP_1) | instid1(VALU_DEP_1)
	v_fmac_f32_e32 v176, v177, v172
	v_mul_f32_e32 v172, v178, v172
	v_fma_f32 v172, v177, v173, -v172
	scratch_load_b64 v[177:178], off, off offset:308 th:TH_LOAD_LU ; 8-byte Folded Reload
	s_wait_loadcnt 0x0
	v_mul_f32_e32 v173, v178, v175
	s_delay_alu instid0(VALU_DEP_1) | instskip(SKIP_1) | instid1(VALU_DEP_1)
	v_fmac_f32_e32 v173, v177, v174
	v_mul_f32_e32 v174, v178, v174
	v_fma_f32 v174, v177, v175, -v174
	scratch_load_b64 v[177:178], off, off offset:300 th:TH_LOAD_LU ; 8-byte Folded Reload
	s_wait_loadcnt_dscnt 0xf
	v_mul_f32_e32 v175, v178, v165
	s_delay_alu instid0(VALU_DEP_1) | instskip(SKIP_1) | instid1(VALU_DEP_1)
	v_fmac_f32_e32 v175, v177, v164
	v_mul_f32_e32 v164, v178, v164
	v_fma_f32 v164, v177, v165, -v164
	scratch_load_b64 v[177:178], off, off offset:344 th:TH_LOAD_LU ; 8-byte Folded Reload
	v_mul_f32_e32 v165, v195, v167
	s_delay_alu instid0(VALU_DEP_1) | instskip(SKIP_1) | instid1(VALU_DEP_1)
	v_fmac_f32_e32 v165, v194, v166
	v_mul_f32_e32 v166, v195, v166
	v_fma_f32 v166, v194, v167, -v166
	s_wait_dscnt 0xd
	v_mul_f32_e32 v167, v193, v169
	s_delay_alu instid0(VALU_DEP_1) | instskip(SKIP_1) | instid1(VALU_DEP_1)
	v_fmac_f32_e32 v167, v192, v168
	v_mul_f32_e32 v168, v193, v168
	v_fma_f32 v168, v192, v169, -v168
	s_wait_loadcnt 0x0
	v_mul_f32_e32 v169, v178, v171
	s_delay_alu instid0(VALU_DEP_1) | instskip(SKIP_1) | instid1(VALU_DEP_1)
	v_fmac_f32_e32 v169, v177, v170
	v_mul_f32_e32 v170, v178, v170
	v_fma_f32 v170, v177, v171, -v170
	scratch_load_b64 v[177:178], off, off offset:328 th:TH_LOAD_LU ; 8-byte Folded Reload
	s_wait_loadcnt_dscnt 0xb
	v_mul_f32_e32 v171, v178, v161
	s_delay_alu instid0(VALU_DEP_1) | instskip(SKIP_1) | instid1(VALU_DEP_1)
	v_fmac_f32_e32 v171, v177, v160
	v_mul_f32_e32 v160, v178, v160
	v_fma_f32 v160, v177, v161, -v160
	scratch_load_b64 v[177:178], off, off offset:292 th:TH_LOAD_LU ; 8-byte Folded Reload
	v_mul_f32_e32 v161, v203, v163
	global_wb scope:SCOPE_SE
	s_wait_loadcnt_dscnt 0x0
	s_barrier_signal -1
	s_barrier_wait -1
	global_inv scope:SCOPE_SE
	v_fmac_f32_e32 v161, v202, v162
	v_mul_f32_e32 v162, v203, v162
	s_delay_alu instid0(VALU_DEP_1) | instskip(SKIP_1) | instid1(VALU_DEP_1)
	v_fma_f32 v162, v202, v163, -v162
	v_mul_f32_e32 v163, v201, v157
	v_fmac_f32_e32 v163, v200, v156
	v_mul_f32_e32 v156, v201, v156
	s_delay_alu instid0(VALU_DEP_1) | instskip(SKIP_1) | instid1(VALU_DEP_1)
	v_fma_f32 v156, v200, v157, -v156
	v_mul_f32_e32 v157, v199, v159
	v_fmac_f32_e32 v157, v198, v158
	v_mul_f32_e32 v158, v199, v158
	s_delay_alu instid0(VALU_DEP_1) | instskip(SKIP_1) | instid1(VALU_DEP_1)
	v_fma_f32 v158, v198, v159, -v158
	v_mul_f32_e32 v159, v197, v153
	v_fmac_f32_e32 v159, v196, v152
	v_mul_f32_e32 v152, v197, v152
	s_delay_alu instid0(VALU_DEP_1) | instskip(SKIP_1) | instid1(VALU_DEP_1)
	v_fma_f32 v152, v196, v153, -v152
	v_mul_f32_e32 v153, v213, v155
	v_fmac_f32_e32 v153, v212, v154
	v_mul_f32_e32 v154, v213, v154
	s_delay_alu instid0(VALU_DEP_1) | instskip(SKIP_1) | instid1(VALU_DEP_1)
	v_fma_f32 v154, v212, v155, -v154
	v_mul_f32_e32 v155, v211, v149
	v_fmac_f32_e32 v155, v210, v148
	v_mul_f32_e32 v148, v211, v148
	s_delay_alu instid0(VALU_DEP_1) | instskip(SKIP_1) | instid1(VALU_DEP_1)
	v_fma_f32 v148, v210, v149, -v148
	v_mul_f32_e32 v149, v209, v151
	v_fmac_f32_e32 v149, v208, v150
	v_mul_f32_e32 v150, v209, v150
	s_delay_alu instid0(VALU_DEP_1) | instskip(SKIP_1) | instid1(VALU_DEP_1)
	v_fma_f32 v150, v208, v151, -v150
	v_mul_f32_e32 v151, v207, v145
	v_fmac_f32_e32 v151, v206, v144
	v_mul_f32_e32 v144, v207, v144
	s_delay_alu instid0(VALU_DEP_1) | instskip(SKIP_1) | instid1(VALU_DEP_1)
	v_fma_f32 v144, v206, v145, -v144
	v_mul_f32_e32 v145, v205, v147
	v_fmac_f32_e32 v145, v204, v146
	v_mul_f32_e32 v146, v205, v146
	s_delay_alu instid0(VALU_DEP_1) | instskip(SKIP_1) | instid1(VALU_DEP_1)
	v_fma_f32 v146, v204, v147, -v146
	v_mul_f32_e32 v147, v178, v3
	v_fmac_f32_e32 v147, v177, v2
	v_mul_f32_e32 v2, v178, v2
	s_delay_alu instid0(VALU_DEP_1) | instskip(NEXT) | instid1(VALU_DEP_3)
	v_fma_f32 v3, v177, v3, -v2
	v_sub_f32_e32 v2, v140, v147
	scratch_load_b32 v147, off, off offset:428 th:TH_LOAD_LU ; 4-byte Folded Reload
	v_sub_f32_e32 v3, v141, v3
	v_fma_f32 v140, v140, 2.0, -v2
	s_delay_alu instid0(VALU_DEP_2) | instskip(SKIP_4) | instid1(VALU_DEP_2)
	v_fma_f32 v141, v141, 2.0, -v3
	s_wait_loadcnt 0x0
	ds_store_2addr_b64 v147, v[140:141], v[2:3] offset1:28
	v_sub_f32_e32 v2, v142, v176
	v_sub_f32_e32 v3, v143, v172
	v_fma_f32 v140, v142, 2.0, -v2
	scratch_load_b32 v142, off, off offset:388 th:TH_LOAD_LU ; 4-byte Folded Reload
	v_fma_f32 v141, v143, 2.0, -v3
	s_wait_loadcnt 0x0
	ds_store_2addr_b64 v142, v[140:141], v[2:3] offset1:28
	scratch_load_b32 v140, off, off offset:384 th:TH_LOAD_LU ; 4-byte Folded Reload
	v_dual_sub_f32 v2, v136, v173 :: v_dual_sub_f32 v3, v137, v174
	s_delay_alu instid0(VALU_DEP_1) | instskip(NEXT) | instid1(VALU_DEP_2)
	v_fma_f32 v136, v136, 2.0, -v2
	v_fma_f32 v137, v137, 2.0, -v3
	s_wait_loadcnt 0x0
	ds_store_2addr_b64 v140, v[136:137], v[2:3] offset1:28
	v_dual_sub_f32 v2, v138, v175 :: v_dual_sub_f32 v3, v139, v164
	s_delay_alu instid0(VALU_DEP_1)
	v_fma_f32 v136, v138, 2.0, -v2
	scratch_load_b32 v138, off, off offset:372 th:TH_LOAD_LU ; 4-byte Folded Reload
	v_fma_f32 v137, v139, 2.0, -v3
	s_wait_loadcnt 0x0
	ds_store_2addr_b64 v138, v[136:137], v[2:3] offset1:28
	scratch_load_b32 v136, off, off offset:412 th:TH_LOAD_LU ; 4-byte Folded Reload
	v_dual_sub_f32 v2, v132, v165 :: v_dual_sub_f32 v3, v133, v166
	s_delay_alu instid0(VALU_DEP_1) | instskip(NEXT) | instid1(VALU_DEP_2)
	v_fma_f32 v132, v132, 2.0, -v2
	v_fma_f32 v133, v133, 2.0, -v3
	s_wait_loadcnt 0x0
	ds_store_2addr_b64 v136, v[132:133], v[2:3] offset1:28
	v_dual_sub_f32 v2, v134, v167 :: v_dual_sub_f32 v3, v135, v168
	scratch_load_b32 v136, off, off offset:380 th:TH_LOAD_LU ; 4-byte Folded Reload
	v_fma_f32 v132, v134, 2.0, -v2
	scratch_load_b32 v134, off, off offset:408 th:TH_LOAD_LU ; 4-byte Folded Reload
	v_fma_f32 v133, v135, 2.0, -v3
	v_sub_f32_e32 v135, v1, v146
	s_delay_alu instid0(VALU_DEP_1)
	v_fma_f32 v1, v1, 2.0, -v135
	s_wait_loadcnt 0x0
	ds_store_2addr_b64 v134, v[132:133], v[2:3] offset1:28
	scratch_load_b32 v132, off, off offset:404 th:TH_LOAD_LU ; 4-byte Folded Reload
	v_dual_sub_f32 v2, v128, v169 :: v_dual_sub_f32 v3, v129, v170
	v_sub_f32_e32 v133, v11, v144
	s_delay_alu instid0(VALU_DEP_2) | instskip(NEXT) | instid1(VALU_DEP_3)
	v_fma_f32 v128, v128, 2.0, -v2
	v_fma_f32 v129, v129, 2.0, -v3
	s_delay_alu instid0(VALU_DEP_3) | instskip(SKIP_4) | instid1(VALU_DEP_2)
	v_fma_f32 v11, v11, 2.0, -v133
	s_wait_loadcnt 0x0
	ds_store_2addr_b64 v132, v[128:129], v[2:3] offset1:28
	v_dual_sub_f32 v2, v130, v171 :: v_dual_sub_f32 v3, v131, v160
	v_sub_f32_e32 v132, v10, v151
	v_fma_f32 v128, v130, 2.0, -v2
	scratch_load_b32 v130, off, off offset:400 th:TH_LOAD_LU ; 4-byte Folded Reload
	v_fma_f32 v129, v131, 2.0, -v3
	v_sub_f32_e32 v131, v9, v150
	v_fma_f32 v10, v10, 2.0, -v132
	s_delay_alu instid0(VALU_DEP_2)
	v_fma_f32 v9, v9, 2.0, -v131
	s_wait_loadcnt 0x0
	ds_store_2addr_b64 v130, v[128:129], v[2:3] offset1:28
	scratch_load_b32 v128, off, off offset:392 th:TH_LOAD_LU ; 4-byte Folded Reload
	v_dual_sub_f32 v2, v124, v161 :: v_dual_sub_f32 v3, v125, v162
	v_dual_sub_f32 v129, v7, v148 :: v_dual_sub_f32 v130, v8, v149
	s_delay_alu instid0(VALU_DEP_2) | instskip(NEXT) | instid1(VALU_DEP_3)
	v_fma_f32 v124, v124, 2.0, -v2
	v_fma_f32 v125, v125, 2.0, -v3
	s_delay_alu instid0(VALU_DEP_3) | instskip(NEXT) | instid1(VALU_DEP_4)
	v_fma_f32 v7, v7, 2.0, -v129
	v_fma_f32 v8, v8, 2.0, -v130
	s_wait_loadcnt 0x0
	ds_store_2addr_b64 v128, v[124:125], v[2:3] offset1:28
	v_dual_sub_f32 v2, v126, v163 :: v_dual_sub_f32 v3, v127, v156
	v_sub_f32_e32 v128, v6, v155
	s_delay_alu instid0(VALU_DEP_2) | instskip(SKIP_4) | instid1(VALU_DEP_2)
	v_fma_f32 v124, v126, 2.0, -v2
	scratch_load_b32 v126, off, off offset:396 th:TH_LOAD_LU ; 4-byte Folded Reload
	v_fma_f32 v125, v127, 2.0, -v3
	v_sub_f32_e32 v127, v5, v154
	v_fma_f32 v6, v6, 2.0, -v128
	v_fma_f32 v5, v5, 2.0, -v127
	s_wait_loadcnt 0x0
	ds_store_2addr_b64 v126, v[124:125], v[2:3] offset1:28
	v_dual_sub_f32 v2, v120, v157 :: v_dual_sub_f32 v3, v121, v158
	v_dual_sub_f32 v124, v122, v159 :: v_dual_sub_f32 v125, v123, v152
	v_sub_f32_e32 v126, v4, v153
	s_delay_alu instid0(VALU_DEP_3) | instskip(NEXT) | instid1(VALU_DEP_4)
	v_fma_f32 v120, v120, 2.0, -v2
	v_fma_f32 v121, v121, 2.0, -v3
	s_delay_alu instid0(VALU_DEP_4)
	v_fma_f32 v122, v122, 2.0, -v124
	v_fma_f32 v123, v123, 2.0, -v125
	;; [unrolled: 1-line block ×3, first 2 shown]
	v_sub_f32_e32 v134, v0, v145
	ds_store_2addr_b64 v136, v[120:121], v[2:3] offset1:28
	scratch_load_b32 v2, off, off offset:376 th:TH_LOAD_LU ; 4-byte Folded Reload
	v_fma_f32 v0, v0, 2.0, -v134
	s_wait_loadcnt 0x0
	ds_store_2addr_b64 v2, v[122:123], v[124:125] offset1:28
	scratch_load_b32 v2, off, off offset:368 th:TH_LOAD_LU ; 4-byte Folded Reload
	s_wait_loadcnt 0x0
	ds_store_2addr_b64 v2, v[4:5], v[126:127] offset1:28
	scratch_load_b32 v2, off, off offset:364 th:TH_LOAD_LU ; 4-byte Folded Reload
	;; [unrolled: 3-line block ×5, first 2 shown]
	s_wait_loadcnt 0x0
	ds_store_2addr_b64 v2, v[0:1], v[134:135] offset1:28
	s_and_saveexec_b32 s1, s0
	s_cbranch_execz .LBB0_21
; %bb.20:
	s_clause 0x1
	scratch_load_b64 v[1:2], off, off offset:432 th:TH_LOAD_LU
	scratch_load_b32 v4, off, off offset:280 th:TH_LOAD_LU
	s_wait_loadcnt 0x1
	v_mul_f32_e32 v0, v2, v118
	s_wait_loadcnt 0x0
	v_add_nc_u32_e32 v4, 0x3800, v4
	s_delay_alu instid0(VALU_DEP_2) | instskip(SKIP_1) | instid1(VALU_DEP_1)
	v_fma_f32 v0, v1, v119, -v0
	v_mul_f32_e32 v2, v2, v119
	v_fmac_f32_e32 v2, v1, v118
	s_delay_alu instid0(VALU_DEP_1) | instskip(NEXT) | instid1(VALU_DEP_1)
	v_dual_sub_f32 v1, v117, v0 :: v_dual_sub_f32 v0, v116, v2
	v_fma_f32 v3, v117, 2.0, -v1
	s_delay_alu instid0(VALU_DEP_2)
	v_fma_f32 v2, v116, 2.0, -v0
	ds_store_2addr_b64 v4, v[2:3], v[0:1] offset0:112 offset1:140
.LBB0_21:
	s_wait_alu 0xfffe
	s_or_b32 exec_lo, exec_lo, s1
	v_add_nc_u32_e32 v122, 0x400, v255
	v_add_nc_u32_e32 v123, 0x1000, v255
	global_wb scope:SCOPE_SE
	s_wait_dscnt 0x0
	s_barrier_signal -1
	s_barrier_wait -1
	global_inv scope:SCOPE_SE
	ds_load_2addr_b64 v[0:3], v122 offset0:96 offset1:152
	ds_load_2addr_b64 v[125:128], v255 offset1:56
	ds_load_2addr_b64 v[129:132], v123 offset0:48 offset1:104
	v_add_nc_u32_e32 v121, 0x2000, v255
	v_add_nc_u32_e32 v116, 0x2800, v255
	;; [unrolled: 1-line block ×4, first 2 shown]
	s_mov_b32 s2, 0xec259dc8
	s_mov_b32 s3, 0x3f40b7e6
	s_wait_dscnt 0x2
	v_mul_f32_e32 v177, v17, v3
	v_dual_mul_f32 v9, v17, v2 :: v_dual_add_nc_u32 v118, 0x1800, v255
	s_wait_dscnt 0x0
	v_mul_f32_e32 v180, v19, v132
	v_mul_f32_e32 v178, v19, v130
	v_dual_fmac_f32 v177, v16, v2 :: v_dual_mul_f32 v2, v19, v129
	ds_load_2addr_b64 v[133:136], v118 offset0:16 offset1:72
	ds_load_2addr_b64 v[137:140], v121 offset0:96 offset1:152
	;; [unrolled: 1-line block ×6, first 2 shown]
	v_add_nc_u32_e32 v8, 0x2400, v255
	v_dual_fmac_f32 v178, v18, v129 :: v_dual_add_nc_u32 v117, 0x3800, v255
	v_fma_f32 v179, v16, v3, -v9
	v_mul_f32_e32 v3, v19, v131
	v_fma_f32 v19, v18, v130, -v2
	s_wait_dscnt 0x5
	v_dual_fmac_f32 v180, v18, v131 :: v_dual_mul_f32 v129, v13, v136
	ds_load_2addr_b64 v[157:160], v116 offset0:176 offset1:232
	s_wait_dscnt 0x2
	v_mul_f32_e32 v2, v17, v149
	v_mul_f32_e32 v131, v17, v150
	;; [unrolled: 1-line block ×3, first 2 shown]
	ds_load_2addr_b64 v[4:7], v255 offset0:112 offset1:168
	ds_load_2addr_b64 v[161:164], v123 offset0:160 offset1:216
	;; [unrolled: 1-line block ×3, first 2 shown]
	v_fma_f32 v130, v18, v132, -v3
	v_mul_f32_e32 v3, v13, v135
	v_fma_f32 v132, v16, v150, -v2
	v_dual_mul_f32 v2, v15, v137 :: v_dual_fmac_f32 v129, v12, v135
	ds_load_2addr_b64 v[169:172], v117 offset1:56
	ds_load_2addr_b64 v[173:176], v119 offset0:192 offset1:248
	v_fma_f32 v18, v12, v136, -v3
	v_mul_f32_e32 v3, v15, v139
	v_fma_f32 v136, v14, v138, -v2
	s_wait_dscnt 0x6
	v_mul_f32_e32 v2, v13, v153
	v_dual_fmac_f32 v131, v16, v149 :: v_dual_add_nc_u32 v124, 0x1c00, v255
	v_mul_f32_e32 v135, v15, v140
	v_fmac_f32_e32 v17, v14, v137
	v_mul_f32_e32 v137, v21, v144
	v_fma_f32 v138, v14, v140, -v3
	v_mul_f32_e32 v140, v23, v146
	v_mul_f32_e32 v3, v23, v145
	v_fma_f32 v149, v12, v154, -v2
	v_mul_f32_e32 v2, v21, v143
	v_fmac_f32_e32 v135, v14, v139
	v_fmac_f32_e32 v137, v20, v143
	v_mul_f32_e32 v143, v23, v148
	v_dual_mul_f32 v9, v23, v147 :: v_dual_fmac_f32 v140, v22, v145
	v_fma_f32 v23, v22, v146, -v3
	s_wait_dscnt 0x5
	v_mul_f32_e32 v145, v21, v158
	v_mul_f32_e32 v3, v21, v157
	v_fma_f32 v21, v20, v144, -v2
	v_mul_f32_e32 v144, v25, v152
	v_mul_f32_e32 v139, v13, v154
	;; [unrolled: 1-line block ×3, first 2 shown]
	s_wait_dscnt 0x3
	v_mul_f32_e32 v146, v27, v162
	ds_load_2addr_b64 v[13:16], v120 offset0:32 offset1:88
	v_fmac_f32_e32 v144, v24, v151
	v_fmac_f32_e32 v139, v12, v153
	s_wait_dscnt 0x3
	v_dual_mul_f32 v151, v35, v166 :: v_dual_fmac_f32 v146, v26, v161
	v_fmac_f32_e32 v143, v22, v147
	v_fma_f32 v22, v22, v148, -v9
	v_fma_f32 v147, v24, v152, -v2
	v_mul_f32_e32 v2, v27, v161
	ds_load_2addr_b64 v[9:12], v124 offset0:112 offset1:168
	v_mul_f32_e32 v148, v33, v156
	s_wait_dscnt 0x2
	v_dual_mul_f32 v24, v57, v173 :: v_dual_mul_f32 v153, v31, v170
	v_fma_f32 v150, v26, v162, -v2
	v_mul_f32_e32 v26, v59, v163
	v_fma_f32 v25, v20, v158, -v3
	v_mul_f32_e32 v3, v33, v155
	v_fmac_f32_e32 v148, v32, v155
	v_dual_fmac_f32 v145, v20, v157 :: v_dual_mul_f32 v20, v29, v159
	v_mul_f32_e32 v2, v35, v165
	v_dual_mul_f32 v158, v45, v176 :: v_dual_fmac_f32 v151, v34, v165
	v_mul_f32_e32 v162, v43, v142
	s_delay_alu instid0(VALU_DEP_4)
	v_fma_f32 v155, v28, v160, -v20
	v_mul_f32_e32 v20, v31, v169
	v_fma_f32 v152, v32, v156, -v3
	v_mul_f32_e32 v156, v57, v174
	v_mul_f32_e32 v35, v29, v160
	v_dual_mul_f32 v57, v59, v164 :: v_dual_fmac_f32 v158, v44, v175
	v_fma_f32 v59, v30, v170, -v20
	s_delay_alu instid0(VALU_DEP_4) | instskip(NEXT) | instid1(VALU_DEP_4)
	v_fmac_f32_e32 v156, v56, v173
	v_fmac_f32_e32 v35, v28, v159
	s_delay_alu instid0(VALU_DEP_4)
	v_dual_fmac_f32 v57, v58, v163 :: v_dual_mul_f32 v160, v47, v134
	s_wait_dscnt 0x0
	v_mul_f32_e32 v157, v53, v10
	v_mul_f32_e32 v20, v53, v9
	v_fma_f32 v154, v34, v166, -v2
	ds_load_b64 v[2:3], v255 offset:15232
	v_fmac_f32_e32 v160, v46, v133
	v_fmac_f32_e32 v153, v30, v169
	v_fma_f32 v56, v56, v174, -v24
	v_mul_f32_e32 v53, v55, v168
	v_dual_mul_f32 v24, v55, v167 :: v_dual_mul_f32 v55, v49, v14
	v_fmac_f32_e32 v162, v42, v141
	v_fmac_f32_e32 v157, v52, v9
	v_fma_f32 v52, v52, v10, -v20
	v_mul_f32_e32 v9, v49, v13
	v_mul_f32_e32 v49, v51, v172
	v_dual_mul_f32 v10, v51, v171 :: v_dual_fmac_f32 v55, v48, v13
	v_fma_f32 v58, v58, v164, -v26
	s_delay_alu instid0(VALU_DEP_4) | instskip(NEXT) | instid1(VALU_DEP_4)
	v_fma_f32 v48, v48, v14, -v9
	v_dual_fmac_f32 v49, v50, v171 :: v_dual_sub_f32 v14, v19, v21
	s_delay_alu instid0(VALU_DEP_4) | instskip(SKIP_4) | instid1(VALU_DEP_4)
	v_fma_f32 v50, v50, v172, -v10
	v_dual_mul_f32 v9, v47, v133 :: v_dual_mul_f32 v10, v41, v11
	v_mul_f32_e32 v13, v45, v175
	v_mul_f32_e32 v161, v41, v12
	v_fmac_f32_e32 v53, v54, v167
	v_fma_f32 v133, v46, v134, -v9
	v_fma_f32 v134, v40, v12, -v10
	v_dual_mul_f32 v10, v37, v15 :: v_dual_mul_f32 v9, v43, v141
	v_dual_mul_f32 v141, v37, v16 :: v_dual_add_f32 v12, v19, v21
	v_fma_f32 v159, v44, v176, -v13
	s_delay_alu instid0(VALU_DEP_3)
	v_fma_f32 v164, v36, v16, -v10
	v_add_f32_e32 v16, v18, v136
	v_sub_f32_e32 v18, v136, v18
	v_fmac_f32_e32 v161, v40, v11
	v_dual_sub_f32 v10, v179, v23 :: v_dual_sub_f32 v13, v178, v137
	s_wait_dscnt 0x0
	s_delay_alu instid0(VALU_DEP_3)
	v_dual_mul_f32 v163, v39, v3 :: v_dual_sub_f32 v28, v18, v14
	v_fmac_f32_e32 v141, v36, v15
	v_add_f32_e32 v15, v129, v17
	v_sub_f32_e32 v17, v17, v129
	v_mul_f32_e32 v11, v39, v2
	v_fma_f32 v54, v54, v168, -v24
	v_mul_f32_e32 v28, 0x3f08b237, v28
	v_dual_sub_f32 v32, v138, v149 :: v_dual_sub_f32 v45, v151, v148
	s_delay_alu instid0(VALU_DEP_4)
	v_fma_f32 v165, v38, v3, -v11
	v_add_f32_e32 v3, v179, v23
	v_add_f32_e32 v11, v178, v137
	global_wb scope:SCOPE_SE
	s_barrier_signal -1
	s_barrier_wait -1
	v_add_f32_e32 v20, v12, v3
	v_dual_sub_f32 v23, v12, v3 :: v_dual_sub_f32 v26, v3, v16
	v_dual_sub_f32 v12, v16, v12 :: v_dual_fmac_f32 v163, v38, v2
	s_delay_alu instid0(VALU_DEP_3) | instskip(SKIP_4) | instid1(VALU_DEP_4)
	v_add_f32_e32 v16, v16, v20
	v_dual_add_f32 v2, v177, v140 :: v_dual_add_f32 v3, v18, v14
	v_sub_f32_e32 v18, v10, v18
	v_sub_f32_e32 v14, v14, v10
	v_mul_f32_e32 v20, 0x3f4a47b2, v26
	v_dual_add_f32 v19, v11, v2 :: v_dual_sub_f32 v24, v2, v15
	v_fma_f32 v142, v42, v142, -v9
	v_dual_sub_f32 v9, v177, v140 :: v_dual_add_f32 v10, v3, v10
	v_add_f32_e32 v3, v126, v16
	v_sub_f32_e32 v21, v11, v2
	v_dual_sub_f32 v11, v15, v11 :: v_dual_mul_f32 v26, 0x3d64c772, v12
	v_fmamk_f32 v12, v12, 0x3d64c772, v20
	v_mul_f32_e32 v30, 0xbf5ff5aa, v14
	v_fma_f32 v20, 0xbf3bfb3b, v23, -v20
	v_fmamk_f32 v16, v16, 0xbf955555, v3
	v_fma_f32 v26, 0x3f3bfb3b, v23, -v26
	v_fmamk_f32 v23, v18, 0xbeae86e6, v28
	v_fma_f32 v28, 0xbf5ff5aa, v14, -v28
	v_add_f32_e32 v15, v15, v19
	v_mul_f32_e32 v19, 0x3f4a47b2, v24
	v_mul_f32_e32 v24, 0x3d64c772, v11
	v_add_f32_e32 v2, v17, v13
	v_add_f32_e32 v20, v20, v16
	v_fmac_f32_e32 v28, 0xbee1c552, v10
	v_fmamk_f32 v11, v11, 0x3d64c772, v19
	v_fma_f32 v24, 0x3f3bfb3b, v21, -v24
	v_sub_f32_e32 v27, v17, v13
	v_sub_f32_e32 v17, v9, v17
	;; [unrolled: 1-line block ×3, first 2 shown]
	v_dual_add_f32 v9, v2, v9 :: v_dual_add_f32 v2, v125, v15
	s_delay_alu instid0(VALU_DEP_4)
	v_mul_f32_e32 v27, 0x3f08b237, v27
	v_fma_f32 v19, 0xbf3bfb3b, v21, -v19
	v_add_f32_e32 v31, v12, v16
	global_inv scope:SCOPE_SE
	v_fmamk_f32 v15, v15, 0xbf955555, v2
	v_fmamk_f32 v21, v17, 0xbeae86e6, v27
	v_fma_f32 v27, 0xbf5ff5aa, v13, -v27
	s_delay_alu instid0(VALU_DEP_3) | instskip(NEXT) | instid1(VALU_DEP_2)
	v_dual_sub_f32 v46, v154, v152 :: v_dual_add_f32 v19, v19, v15
	v_fmac_f32_e32 v27, 0xbee1c552, v9
	v_mul_f32_e32 v29, 0xbf5ff5aa, v13
	s_delay_alu instid0(VALU_DEP_1)
	v_fma_f32 v29, 0x3eae86e6, v17, -v29
	v_fma_f32 v17, 0x3eae86e6, v18, -v30
	v_add_f32_e32 v18, v24, v15
	v_add_f32_e32 v24, v26, v16
	;; [unrolled: 1-line block ×3, first 2 shown]
	v_dual_add_f32 v26, v180, v145 :: v_dual_fmac_f32 v23, 0xbee1c552, v10
	v_fmac_f32_e32 v17, 0xbee1c552, v10
	v_sub_f32_e32 v13, v18, v28
	v_add_f32_e32 v14, v27, v24
	v_sub_f32_e32 v16, v24, v27
	v_dual_sub_f32 v24, v131, v143 :: v_dual_add_f32 v15, v28, v18
	v_sub_f32_e32 v28, v180, v145
	v_fmac_f32_e32 v29, 0xbee1c552, v9
	v_add_f32_e32 v11, v17, v19
	v_sub_f32_e32 v17, v19, v17
	v_sub_f32_e32 v19, v30, v23
	v_add_f32_e32 v27, v130, v25
	v_fmac_f32_e32 v21, 0xbee1c552, v9
	v_sub_f32_e32 v12, v20, v29
	v_dual_add_f32 v18, v29, v20 :: v_dual_add_f32 v29, v139, v135
	v_add_f32_e32 v9, v23, v30
	v_add_f32_e32 v23, v132, v22
	;; [unrolled: 1-line block ×3, first 2 shown]
	v_sub_f32_e32 v22, v132, v22
	v_add_f32_e32 v132, v161, v162
	s_delay_alu instid0(VALU_DEP_4) | instskip(SKIP_4) | instid1(VALU_DEP_2)
	v_add_f32_e32 v34, v27, v23
	v_sub_f32_e32 v10, v31, v21
	v_add_f32_e32 v20, v21, v31
	v_sub_f32_e32 v31, v135, v139
	v_add_f32_e32 v21, v131, v143
	v_dual_sub_f32 v135, v162, v161 :: v_dual_sub_f32 v40, v31, v28
	s_delay_alu instid0(VALU_DEP_1)
	v_dual_mul_f32 v40, 0x3f08b237, v40 :: v_dual_sub_f32 v37, v27, v23
	v_sub_f32_e32 v23, v23, v30
	v_sub_f32_e32 v27, v30, v27
	v_add_f32_e32 v30, v30, v34
	v_sub_f32_e32 v38, v21, v29
	v_add_f32_e32 v33, v26, v21
	v_sub_f32_e32 v36, v26, v21
	v_sub_f32_e32 v26, v29, v26
	s_delay_alu instid0(VALU_DEP_4) | instskip(NEXT) | instid1(VALU_DEP_2)
	v_mul_f32_e32 v34, 0x3f4a47b2, v38
	v_mul_f32_e32 v38, 0x3d64c772, v26
	s_delay_alu instid0(VALU_DEP_2) | instskip(SKIP_2) | instid1(VALU_DEP_4)
	v_dual_fmamk_f32 v26, v26, 0x3d64c772, v34 :: v_dual_add_f32 v21, v31, v28
	v_sub_f32_e32 v31, v24, v31
	v_dual_sub_f32 v28, v28, v24 :: v_dual_sub_f32 v25, v130, v25
	v_fma_f32 v38, 0x3f3bfb3b, v36, -v38
	s_delay_alu instid0(VALU_DEP_4) | instskip(SKIP_1) | instid1(VALU_DEP_4)
	v_add_f32_e32 v24, v21, v24
	v_fma_f32 v34, 0xbf3bfb3b, v36, -v34
	v_mul_f32_e32 v42, 0xbf5ff5aa, v28
	v_fmamk_f32 v36, v31, 0xbeae86e6, v40
	v_fma_f32 v40, 0xbf5ff5aa, v28, -v40
	v_add_f32_e32 v39, v32, v25
	v_dual_sub_f32 v41, v32, v25 :: v_dual_sub_f32 v32, v22, v32
	s_delay_alu instid0(VALU_DEP_4) | instskip(NEXT) | instid1(VALU_DEP_4)
	v_fmac_f32_e32 v36, 0xbee1c552, v24
	v_fmac_f32_e32 v40, 0xbee1c552, v24
	v_fma_f32 v42, 0x3eae86e6, v31, -v42
	v_add_f32_e32 v29, v29, v33
	v_sub_f32_e32 v25, v25, v22
	v_add_f32_e32 v33, v39, v22
	v_add_f32_e32 v22, v128, v30
	s_delay_alu instid0(VALU_DEP_4) | instskip(SKIP_2) | instid1(VALU_DEP_3)
	v_dual_fmac_f32 v42, 0xbee1c552, v24 :: v_dual_add_f32 v21, v127, v29
	v_mul_f32_e32 v39, 0x3d64c772, v27
	v_mul_f32_e32 v41, 0x3f08b237, v41
	v_dual_fmamk_f32 v30, v30, 0xbf955555, v22 :: v_dual_fmamk_f32 v29, v29, 0xbf955555, v21
	s_delay_alu instid0(VALU_DEP_3) | instskip(NEXT) | instid1(VALU_DEP_2)
	v_fma_f32 v39, 0x3f3bfb3b, v37, -v39
	v_dual_add_f32 v34, v34, v29 :: v_dual_mul_f32 v23, 0x3f4a47b2, v23
	s_delay_alu instid0(VALU_DEP_1) | instskip(SKIP_1) | instid1(VALU_DEP_2)
	v_fmamk_f32 v27, v27, 0x3d64c772, v23
	v_fma_f32 v23, 0xbf3bfb3b, v37, -v23
	v_dual_fmamk_f32 v37, v32, 0xbeae86e6, v41 :: v_dual_add_f32 v44, v27, v30
	s_delay_alu instid0(VALU_DEP_1) | instskip(NEXT) | instid1(VALU_DEP_1)
	v_dual_sub_f32 v24, v44, v36 :: v_dual_mul_f32 v43, 0xbf5ff5aa, v25
	v_fma_f32 v31, 0x3eae86e6, v32, -v43
	v_add_f32_e32 v32, v38, v29
	v_add_f32_e32 v38, v39, v30
	;; [unrolled: 1-line block ×3, first 2 shown]
	s_delay_alu instid0(VALU_DEP_2)
	v_add_f32_e32 v28, v40, v38
	v_sub_f32_e32 v30, v38, v40
	v_add_f32_e32 v40, v146, v35
	v_fma_f32 v41, 0xbf5ff5aa, v25, -v41
	v_sub_f32_e32 v35, v146, v35
	v_fmac_f32_e32 v31, 0xbee1c552, v33
	v_sub_f32_e32 v38, v144, v153
	v_fmac_f32_e32 v37, 0xbee1c552, v33
	s_delay_alu instid0(VALU_DEP_4) | instskip(NEXT) | instid1(VALU_DEP_4)
	v_dual_fmac_f32 v41, 0xbee1c552, v33 :: v_dual_sub_f32 v128, v45, v35
	v_dual_add_f32 v126, v45, v35 :: v_dual_add_f32 v25, v31, v34
	v_sub_f32_e32 v31, v34, v31
	s_delay_alu instid0(VALU_DEP_3)
	v_sub_f32_e32 v27, v32, v41
	v_add_f32_e32 v34, v36, v44
	v_add_f32_e32 v36, v144, v153
	v_dual_add_f32 v43, v26, v29 :: v_dual_add_f32 v44, v152, v154
	v_dual_add_f32 v29, v41, v32 :: v_dual_add_f32 v32, v42, v39
	ds_store_2addr_b64 v255, v[2:3], v[9:10] offset1:56
	ds_store_2addr_b64 v255, v[11:12], v[13:14] offset0:112 offset1:168
	ds_store_2addr_b64 v122, v[15:16], v[17:18] offset0:96 offset1:152
	;; [unrolled: 1-line block ×3, first 2 shown]
	scratch_load_b32 v9, off, off offset:416 th:TH_LOAD_LU ; 4-byte Folded Reload
	v_sub_f32_e32 v26, v39, v42
	v_sub_f32_e32 v33, v43, v37
	;; [unrolled: 1-line block ×3, first 2 shown]
	v_add_f32_e32 v23, v37, v43
	v_add_f32_e32 v43, v148, v151
	;; [unrolled: 1-line block ×3, first 2 shown]
	v_sub_f32_e32 v59, v40, v36
	v_sub_f32_e32 v45, v38, v45
	;; [unrolled: 1-line block ×3, first 2 shown]
	v_dual_add_f32 v38, v126, v38 :: v_dual_add_f32 v47, v40, v36
	v_sub_f32_e32 v36, v36, v43
	v_sub_f32_e32 v40, v43, v40
	v_mul_f32_e32 v126, 0x3f08b237, v128
	v_sub_f32_e32 v42, v150, v155
	s_delay_alu instid0(VALU_DEP_4) | instskip(SKIP_2) | instid1(VALU_DEP_4)
	v_dual_add_f32 v43, v43, v47 :: v_dual_mul_f32 v36, 0x3f4a47b2, v36
	v_add_f32_e32 v41, v150, v155
	v_mul_f32_e32 v47, 0x3d64c772, v40
	v_add_f32_e32 v127, v46, v42
	s_delay_alu instid0(VALU_DEP_4) | instskip(NEXT) | instid1(VALU_DEP_4)
	v_dual_sub_f32 v129, v46, v42 :: v_dual_fmamk_f32 v40, v40, 0x3d64c772, v36
	v_add_f32_e32 v51, v41, v37
	v_sub_f32_e32 v125, v41, v37
	v_sub_f32_e32 v37, v37, v44
	;; [unrolled: 1-line block ×3, first 2 shown]
	v_add_f32_e32 v4, v4, v43
	v_add_f32_e32 v44, v44, v51
	v_mul_f32_e32 v128, 0xbf5ff5aa, v35
	v_mul_f32_e32 v37, 0x3f4a47b2, v37
	v_mul_f32_e32 v51, 0x3d64c772, v41
	v_fmamk_f32 v43, v43, 0xbf955555, v4
	v_add_f32_e32 v5, v5, v44
	s_delay_alu instid0(VALU_DEP_4) | instskip(NEXT) | instid1(VALU_DEP_4)
	v_fmamk_f32 v41, v41, 0x3d64c772, v37
	v_fma_f32 v51, 0x3f3bfb3b, v125, -v51
	v_fma_f32 v37, 0xbf3bfb3b, v125, -v37
	s_delay_alu instid0(VALU_DEP_4)
	v_fmamk_f32 v44, v44, 0xbf955555, v5
	v_sub_f32_e32 v46, v39, v46
	v_sub_f32_e32 v42, v42, v39
	v_add_f32_e32 v39, v127, v39
	v_mul_f32_e32 v127, 0x3f08b237, v129
	ds_store_2addr_b64 v119, v[23:24], v[25:26] offset0:192 offset1:248
	ds_store_2addr_b64 v123, v[27:28], v[29:30] offset0:48 offset1:104
	;; [unrolled: 1-line block ×3, first 2 shown]
	scratch_load_b32 v10, off, off offset:424 th:TH_LOAD_LU ; 4-byte Folded Reload
	v_mul_f32_e32 v129, 0xbf5ff5aa, v42
	v_fma_f32 v42, 0xbf5ff5aa, v42, -v127
	s_delay_alu instid0(VALU_DEP_1) | instskip(SKIP_4) | instid1(VALU_DEP_4)
	v_fmac_f32_e32 v42, 0xbee1c552, v39
	v_fma_f32 v47, 0x3f3bfb3b, v59, -v47
	v_fma_f32 v36, 0xbf3bfb3b, v59, -v36
	v_fmamk_f32 v59, v45, 0xbeae86e6, v126
	v_fma_f32 v45, 0x3eae86e6, v45, -v128
	v_dual_add_f32 v128, v41, v44 :: v_dual_add_f32 v41, v47, v43
	v_add_f32_e32 v47, v51, v44
	v_add_f32_e32 v51, v56, v50
	v_sub_f32_e32 v50, v56, v50
	v_add_f32_e32 v56, v57, v55
	v_sub_f32_e32 v55, v57, v55
	v_add_f32_e32 v57, v157, v53
	v_fmamk_f32 v125, v46, 0xbeae86e6, v127
	v_fma_f32 v46, 0x3eae86e6, v46, -v129
	v_sub_f32_e32 v53, v53, v157
	v_fmac_f32_e32 v59, 0xbee1c552, v38
	v_fma_f32 v126, 0xbf5ff5aa, v35, -v126
	v_add_f32_e32 v44, v37, v44
	v_fmac_f32_e32 v46, 0xbee1c552, v39
	v_sub_f32_e32 v130, v53, v55
	v_add_f32_e32 v127, v40, v43
	v_add_f32_e32 v43, v36, v43
	v_sub_f32_e32 v36, v128, v59
	s_delay_alu instid0(VALU_DEP_2)
	v_dual_fmac_f32 v126, 0xbee1c552, v38 :: v_dual_add_f32 v37, v46, v43
	v_sub_f32_e32 v43, v43, v46
	v_add_f32_e32 v46, v59, v128
	v_add_f32_e32 v59, v58, v48
	v_sub_f32_e32 v48, v58, v48
	v_add_f32_e32 v58, v52, v54
	v_dual_sub_f32 v52, v54, v52 :: v_dual_fmac_f32 v125, 0xbee1c552, v39
	v_dual_sub_f32 v39, v41, v42 :: v_dual_add_f32 v40, v126, v47
	v_add_f32_e32 v41, v42, v41
	s_delay_alu instid0(VALU_DEP_3) | instskip(SKIP_3) | instid1(VALU_DEP_4)
	v_dual_add_f32 v129, v52, v48 :: v_dual_sub_f32 v42, v47, v126
	v_sub_f32_e32 v131, v52, v48
	v_sub_f32_e32 v52, v50, v52
	;; [unrolled: 1-line block ×3, first 2 shown]
	v_dual_add_f32 v50, v129, v50 :: v_dual_add_f32 v47, v156, v49
	v_dual_sub_f32 v49, v156, v49 :: v_dual_add_f32 v128, v53, v55
	v_mul_f32_e32 v129, 0x3f08b237, v131
	s_delay_alu instid0(VALU_DEP_3) | instskip(NEXT) | instid1(VALU_DEP_3)
	v_dual_mul_f32 v131, 0xbf5ff5aa, v48 :: v_dual_add_f32 v54, v56, v47
	v_sub_f32_e32 v53, v49, v53
	v_sub_f32_e32 v55, v55, v49
	v_add_f32_e32 v49, v128, v49
	v_fmac_f32_e32 v45, 0xbee1c552, v38
	v_add_f32_e32 v54, v57, v54
	v_dual_sub_f32 v126, v56, v47 :: v_dual_sub_f32 v47, v47, v57
	v_sub_f32_e32 v56, v57, v56
	s_delay_alu instid0(VALU_DEP_4)
	v_sub_f32_e32 v38, v44, v45
	v_dual_add_f32 v44, v45, v44 :: v_dual_sub_f32 v45, v127, v125
	v_dual_add_f32 v6, v6, v54 :: v_dual_add_f32 v35, v125, v127
	v_add_f32_e32 v125, v59, v51
	v_sub_f32_e32 v127, v59, v51
	v_sub_f32_e32 v51, v51, v58
	;; [unrolled: 1-line block ×3, first 2 shown]
	v_mul_f32_e32 v47, 0x3f4a47b2, v47
	v_dual_add_f32 v57, v58, v125 :: v_dual_mul_f32 v58, 0x3d64c772, v56
	s_delay_alu instid0(VALU_DEP_4) | instskip(NEXT) | instid1(VALU_DEP_4)
	v_mul_f32_e32 v51, 0x3f4a47b2, v51
	v_mul_f32_e32 v125, 0x3d64c772, v59
	s_delay_alu instid0(VALU_DEP_3)
	v_dual_mul_f32 v128, 0x3f08b237, v130 :: v_dual_add_f32 v7, v7, v57
	v_mul_f32_e32 v130, 0xbf5ff5aa, v55
	v_fmamk_f32 v54, v54, 0xbf955555, v6
	v_fmamk_f32 v56, v56, 0x3d64c772, v47
	;; [unrolled: 1-line block ×4, first 2 shown]
	v_fma_f32 v58, 0x3f3bfb3b, v126, -v58
	v_fma_f32 v125, 0x3f3bfb3b, v127, -v125
	;; [unrolled: 1-line block ×4, first 2 shown]
	v_dual_fmamk_f32 v126, v53, 0xbeae86e6, v128 :: v_dual_fmamk_f32 v127, v52, 0xbeae86e6, v129
	v_fma_f32 v55, 0xbf5ff5aa, v55, -v128
	v_fma_f32 v128, 0xbf5ff5aa, v48, -v129
	;; [unrolled: 1-line block ×4, first 2 shown]
	v_add_f32_e32 v131, v56, v54
	v_dual_add_f32 v53, v58, v54 :: v_dual_add_f32 v56, v125, v57
	v_dual_add_f32 v58, v47, v54 :: v_dual_fmac_f32 v55, 0xbee1c552, v49
	s_delay_alu instid0(VALU_DEP_4) | instskip(SKIP_1) | instid1(VALU_DEP_3)
	v_dual_fmac_f32 v130, 0xbee1c552, v50 :: v_dual_add_f32 v59, v59, v57
	v_add_f32_e32 v57, v51, v57
	v_dual_fmac_f32 v129, 0xbee1c552, v49 :: v_dual_add_f32 v52, v55, v56
	s_delay_alu instid0(VALU_DEP_3) | instskip(SKIP_2) | instid1(VALU_DEP_4)
	v_dual_sub_f32 v54, v56, v55 :: v_dual_sub_f32 v55, v58, v130
	v_fmac_f32_e32 v127, 0xbee1c552, v50
	v_fmac_f32_e32 v128, 0xbee1c552, v50
	v_sub_f32_e32 v50, v57, v129
	v_add_f32_e32 v56, v129, v57
	v_add_f32_e32 v125, v159, v165
	;; [unrolled: 1-line block ×3, first 2 shown]
	v_dual_add_f32 v47, v127, v131 :: v_dual_fmac_f32 v126, 0xbee1c552, v49
	v_sub_f32_e32 v51, v53, v128
	v_add_f32_e32 v53, v128, v53
	v_add_f32_e32 v128, v160, v141
	;; [unrolled: 1-line block ×3, first 2 shown]
	v_dual_sub_f32 v139, v129, v125 :: v_dual_sub_f32 v48, v59, v126
	s_wait_loadcnt 0x1
	v_add_nc_u32_e32 v2, 0x1800, v9
	v_add_nc_u32_e32 v3, 0x1c00, v9
	ds_store_2addr_b64 v2, v[4:5], v[35:36] offset0:16 offset1:72
	scratch_load_b32 v5, off, off offset:420 th:TH_LOAD_LU ; 4-byte Folded Reload
	v_sub_f32_e32 v57, v131, v127
	v_sub_f32_e32 v131, v133, v164
	v_add_f32_e32 v133, v134, v142
	v_sub_f32_e32 v134, v142, v134
	ds_store_2addr_b64 v2, v[37:38], v[39:40] offset0:128 offset1:184
	v_sub_f32_e32 v127, v159, v165
	ds_store_2addr_b64 v3, v[41:42], v[43:44] offset0:112 offset1:168
	v_sub_f32_e32 v125, v125, v133
	v_sub_f32_e32 v129, v133, v129
	v_add_f32_e32 v133, v133, v137
	v_sub_f32_e32 v143, v134, v131
	s_delay_alu instid0(VALU_DEP_4) | instskip(NEXT) | instid1(VALU_DEP_4)
	v_mul_f32_e32 v125, 0x3f4a47b2, v125
	v_mul_f32_e32 v137, 0x3d64c772, v129
	s_delay_alu instid0(VALU_DEP_4) | instskip(NEXT) | instid1(VALU_DEP_3)
	v_add_f32_e32 v1, v1, v133
	v_fmamk_f32 v129, v129, 0x3d64c772, v125
	s_delay_alu instid0(VALU_DEP_3) | instskip(NEXT) | instid1(VALU_DEP_3)
	v_fma_f32 v137, 0x3f3bfb3b, v139, -v137
	v_fmamk_f32 v133, v133, 0xbf955555, v1
	v_fma_f32 v125, 0xbf3bfb3b, v139, -v125
	s_delay_alu instid0(VALU_DEP_2)
	v_add_f32_e32 v137, v137, v133
	v_add_f32_e32 v49, v130, v58
	;; [unrolled: 1-line block ×3, first 2 shown]
	v_dual_add_f32 v59, v158, v163 :: v_dual_sub_f32 v130, v160, v141
	v_sub_f32_e32 v126, v158, v163
	v_add_f32_e32 v141, v134, v131
	v_sub_f32_e32 v131, v131, v127
	v_sub_f32_e32 v134, v127, v134
	v_add_f32_e32 v140, v135, v130
	v_sub_f32_e32 v142, v135, v130
	v_sub_f32_e32 v130, v130, v126
	;; [unrolled: 1-line block ×3, first 2 shown]
	s_delay_alu instid0(VALU_DEP_4) | instskip(NEXT) | instid1(VALU_DEP_4)
	v_dual_add_f32 v127, v141, v127 :: v_dual_add_f32 v126, v140, v126
	v_dual_mul_f32 v140, 0x3f08b237, v142 :: v_dual_mul_f32 v141, 0x3f08b237, v143
	s_delay_alu instid0(VALU_DEP_4) | instskip(SKIP_2) | instid1(VALU_DEP_3)
	v_dual_mul_f32 v142, 0xbf5ff5aa, v130 :: v_dual_mul_f32 v143, 0xbf5ff5aa, v131
	s_wait_loadcnt 0x1
	v_add_nc_u32_e32 v3, 0x3000, v10
	v_fmamk_f32 v139, v134, 0xbeae86e6, v141
	v_fma_f32 v131, 0xbf5ff5aa, v131, -v141
	v_fma_f32 v134, 0x3eae86e6, v134, -v143
	v_add_f32_e32 v143, v125, v133
	s_delay_alu instid0(VALU_DEP_4) | instskip(NEXT) | instid1(VALU_DEP_4)
	v_fmac_f32_e32 v139, 0xbee1c552, v127
	v_fmac_f32_e32 v131, 0xbee1c552, v127
	s_delay_alu instid0(VALU_DEP_4)
	v_fmac_f32_e32 v134, 0xbee1c552, v127
	s_wait_loadcnt 0x0
	v_add_nc_u32_e32 v2, 0x2800, v5
	v_add_f32_e32 v136, v128, v59
	v_dual_sub_f32 v138, v128, v59 :: v_dual_sub_f32 v59, v59, v132
	v_sub_f32_e32 v128, v132, v128
	v_add_nc_u32_e32 v4, 0x2000, v5
	s_delay_alu instid0(VALU_DEP_3) | instskip(NEXT) | instid1(VALU_DEP_3)
	v_dual_add_f32 v132, v132, v136 :: v_dual_mul_f32 v59, 0x3f4a47b2, v59
	v_mul_f32_e32 v136, 0x3d64c772, v128
	s_delay_alu instid0(VALU_DEP_2) | instskip(NEXT) | instid1(VALU_DEP_3)
	v_add_f32_e32 v0, v0, v132
	v_fmamk_f32 v128, v128, 0x3d64c772, v59
	s_delay_alu instid0(VALU_DEP_3) | instskip(SKIP_1) | instid1(VALU_DEP_4)
	v_fma_f32 v136, 0x3f3bfb3b, v138, -v136
	v_fma_f32 v59, 0xbf3bfb3b, v138, -v59
	v_fmamk_f32 v132, v132, 0xbf955555, v0
	v_fmamk_f32 v138, v135, 0xbeae86e6, v140
	v_fma_f32 v140, 0xbf5ff5aa, v130, -v140
	v_fma_f32 v135, 0x3eae86e6, v135, -v142
	s_delay_alu instid0(VALU_DEP_4) | instskip(NEXT) | instid1(VALU_DEP_4)
	v_dual_add_f32 v142, v129, v133 :: v_dual_add_f32 v141, v128, v132
	v_fmac_f32_e32 v138, 0xbee1c552, v126
	v_add_f32_e32 v136, v136, v132
	v_dual_add_f32 v59, v59, v132 :: v_dual_fmac_f32 v140, 0xbee1c552, v126
	v_fmac_f32_e32 v135, 0xbee1c552, v126
	s_delay_alu instid0(VALU_DEP_4) | instskip(NEXT) | instid1(VALU_DEP_3)
	v_dual_add_f32 v125, v139, v141 :: v_dual_sub_f32 v126, v142, v138
	v_add_f32_e32 v127, v134, v59
	v_sub_f32_e32 v129, v136, v131
	s_delay_alu instid0(VALU_DEP_4)
	v_sub_f32_e32 v128, v143, v135
	v_dual_add_f32 v130, v140, v137 :: v_dual_add_f32 v131, v131, v136
	v_dual_sub_f32 v132, v137, v140 :: v_dual_sub_f32 v133, v59, v134
	v_add_f32_e32 v134, v135, v143
	ds_store_2addr_b64 v4, v[6:7], v[47:48] offset0:152 offset1:208
	v_dual_sub_f32 v135, v141, v139 :: v_dual_add_nc_u32 v4, 0x3800, v10
	v_add_f32_e32 v136, v138, v142
	ds_store_2addr_b64 v2, v[49:50], v[51:52] offset0:8 offset1:64
	ds_store_2addr_b64 v2, v[53:54], v[55:56] offset0:120 offset1:176
	ds_store_2addr_b64 v3, v[0:1], v[125:126] offset0:32 offset1:88
	ds_store_2addr_b64 v3, v[127:128], v[129:130] offset0:144 offset1:200
	ds_store_2addr_b64 v4, v[131:132], v[133:134] offset1:56
	ds_store_b64 v9, v[45:46] offset:8960
	ds_store_b64 v5, v[57:58] offset:12096
	;; [unrolled: 1-line block ×3, first 2 shown]
	global_wb scope:SCOPE_SE
	s_wait_dscnt 0x0
	s_barrier_signal -1
	s_barrier_wait -1
	global_inv scope:SCOPE_SE
	ds_load_2addr_b64 v[0:3], v119 offset0:80 offset1:136
	ds_load_2addr_b64 v[12:15], v255 offset1:56
	ds_load_2addr_b64 v[16:19], v118 offset0:16 offset1:72
	ds_load_2addr_b64 v[20:23], v121 offset0:96 offset1:152
	ds_load_2addr_b64 v[24:27], v120 offset0:32 offset1:88
	ds_load_2addr_b64 v[28:31], v119 offset0:192 offset1:248
	ds_load_2addr_b64 v[32:35], v8 offset0:80 offset1:136
	ds_load_2addr_b64 v[8:11], v255 offset0:112 offset1:168
	ds_load_2addr_b64 v[36:39], v118 offset0:128 offset1:184
	ds_load_2addr_b64 v[40:43], v120 offset0:144 offset1:200
	ds_load_2addr_b64 v[44:47], v123 offset0:48 offset1:104
	ds_load_2addr_b64 v[49:52], v116 offset0:64 offset1:120
	ds_load_2addr_b64 v[4:7], v122 offset0:96 offset1:152
	ds_load_2addr_b64 v[125:128], v124 offset0:112 offset1:168
	ds_load_2addr_b64 v[129:132], v117 offset1:56
	ds_load_2addr_b64 v[133:136], v123 offset0:160 offset1:216
	ds_load_2addr_b64 v[137:140], v116 offset0:176 offset1:232
	ds_load_b64 v[141:142], v255 offset:15232
	s_wait_dscnt 0x11
	v_mul_f32_e32 v143, v61, v3
	s_wait_dscnt 0xf
	v_dual_mul_f32 v48, v61, v2 :: v_dual_mul_f32 v145, v63, v17
	s_wait_dscnt 0xe
	s_delay_alu instid0(VALU_DEP_2) | instskip(NEXT) | instid1(VALU_DEP_2)
	v_dual_mul_f32 v146, v109, v23 :: v_dual_fmac_f32 v143, v60, v2
	v_fma_f32 v144, v60, v3, -v48
	v_dual_mul_f32 v2, v63, v16 :: v_dual_mul_f32 v3, v109, v22
	s_delay_alu instid0(VALU_DEP_3)
	v_fmac_f32_e32 v146, v108, v22
	s_wait_dscnt 0x7
	v_mul_f32_e32 v60, v85, v47
	s_wait_dscnt 0x6
	v_mul_f32_e32 v57, v77, v52
	v_fma_f32 v147, v62, v17, -v2
	v_fma_f32 v22, v108, v23, -v3
	v_mul_f32_e32 v2, v111, v24
	v_mul_f32_e32 v108, v97, v29
	;; [unrolled: 1-line block ×3, first 2 shown]
	v_dual_mul_f32 v97, v99, v19 :: v_dual_fmac_f32 v60, v84, v46
	s_delay_alu instid0(VALU_DEP_4) | instskip(NEXT) | instid1(VALU_DEP_4)
	v_fma_f32 v23, v110, v25, -v2
	v_fmac_f32_e32 v108, v96, v28
	s_delay_alu instid0(VALU_DEP_4)
	v_fma_f32 v96, v96, v29, -v3
	v_mul_f32_e32 v29, v105, v33
	v_dual_mul_f32 v2, v105, v32 :: v_dual_mul_f32 v3, v107, v26
	v_sub_f32_e32 v28, v144, v147
	v_sub_f32_e32 v17, v144, v23
	v_dual_fmac_f32 v145, v62, v16 :: v_dual_mul_f32 v16, v99, v18
	v_mul_f32_e32 v99, v89, v31
	v_fmac_f32_e32 v29, v104, v32
	v_fma_f32 v32, v104, v33, -v2
	v_mul_f32_e32 v2, v89, v30
	v_fmac_f32_e32 v97, v98, v18
	v_fma_f32 v98, v98, v19, -v16
	v_fma_f32 v33, v106, v27, -v3
	v_fmac_f32_e32 v99, v88, v30
	v_dual_mul_f32 v3, v91, v36 :: v_dual_mul_f32 v16, v73, v34
	v_sub_f32_e32 v30, v23, v22
	v_mul_f32_e32 v89, v91, v37
	v_mul_f32_e32 v91, v73, v35
	v_fma_f32 v73, v88, v31, -v2
	v_mul_f32_e32 v2, v75, v40
	v_fma_f32 v88, v90, v37, -v3
	v_mul_f32_e32 v3, v69, v44
	v_fmac_f32_e32 v91, v72, v34
	v_fma_f32 v72, v72, v35, -v16
	v_mul_f32_e32 v35, v75, v41
	v_mul_f32_e32 v75, v69, v45
	v_fma_f32 v69, v74, v41, -v2
	v_mul_f32_e32 v2, v71, v38
	v_mul_f32_e32 v63, v71, v39
	;; [unrolled: 3-line block ×3, first 2 shown]
	v_sub_f32_e32 v31, v96, v33
	v_fmac_f32_e32 v89, v90, v36
	v_fma_f32 v90, v70, v39, -v2
	v_dual_mul_f32 v2, v85, v46 :: v_dual_fmac_f32 v71, v100, v49
	v_fma_f32 v100, v100, v50, -v3
	s_wait_dscnt 0x4
	v_mul_f32_e32 v3, v87, v125
	v_mul_f32_e32 v16, v103, v42
	v_fma_f32 v54, v84, v47, -v2
	v_dual_mul_f32 v2, v77, v51 :: v_dual_fmac_f32 v35, v74, v40
	s_delay_alu instid0(VALU_DEP_4)
	v_fma_f32 v55, v86, v126, -v3
	s_wait_dscnt 0x3
	v_mul_f32_e32 v3, v79, v129
	v_fma_f32 v101, v102, v43, -v16
	v_fma_f32 v58, v76, v52, -v2
	v_mul_f32_e32 v2, v83, v127
	s_wait_dscnt 0x2
	v_mul_f32_e32 v16, v81, v133
	v_fma_f32 v59, v78, v130, -v3
	s_wait_dscnt 0x1
	v_mul_f32_e32 v3, v93, v137
	v_fmac_f32_e32 v63, v70, v38
	v_fma_f32 v47, v82, v128, -v2
	v_mul_f32_e32 v2, v95, v131
	v_fma_f32 v46, v80, v134, -v16
	v_fma_f32 v49, v92, v138, -v3
	v_dual_mul_f32 v3, v113, v135 :: v_dual_mul_f32 v16, v115, v20
	s_delay_alu instid0(VALU_DEP_4) | instskip(SKIP_2) | instid1(VALU_DEP_4)
	v_fma_f32 v52, v94, v132, -v2
	v_add_f32_e32 v2, v145, v146
	v_mul_f32_e32 v74, v103, v43
	v_fma_f32 v38, v112, v136, -v3
	v_fma_f32 v39, v114, v21, -v16
	v_mul_f32_e32 v3, v65, v139
	v_add_f32_e32 v16, v12, v143
	v_fma_f32 v2, -0.5, v2, v12
	v_fmac_f32_e32 v74, v102, v42
	v_sub_f32_e32 v19, v147, v22
	v_fma_f32 v42, v64, v140, -v3
	s_delay_alu instid0(VALU_DEP_4)
	v_dual_add_f32 v3, v16, v145 :: v_dual_fmamk_f32 v16, v17, 0xbf737871, v2
	v_fmac_f32_e32 v2, 0x3f737871, v17
	v_mul_f32_e32 v109, v111, v25
	v_mul_f32_e32 v40, v115, v21
	;; [unrolled: 1-line block ×3, first 2 shown]
	v_sub_f32_e32 v18, v143, v145
	s_delay_alu instid0(VALU_DEP_4) | instskip(NEXT) | instid1(VALU_DEP_4)
	v_dual_fmac_f32 v2, 0x3f167918, v19 :: v_dual_fmac_f32 v109, v110, v24
	v_fmac_f32_e32 v40, v114, v20
	s_delay_alu instid0(VALU_DEP_4)
	v_fmac_f32_e32 v25, v106, v26
	v_add_f32_e32 v3, v3, v146
	s_wait_dscnt 0x0
	v_mul_f32_e32 v24, v67, v141
	v_dual_sub_f32 v20, v109, v146 :: v_dual_add_f32 v21, v143, v109
	v_dual_fmac_f32 v16, 0xbf167918, v19 :: v_dual_add_f32 v27, v147, v22
	v_mul_f32_e32 v43, v65, v140
	s_delay_alu instid0(VALU_DEP_3) | instskip(NEXT) | instid1(VALU_DEP_4)
	v_add_f32_e32 v26, v18, v20
	v_fma_f32 v18, -0.5, v21, v12
	v_dual_add_f32 v37, v98, v32 :: v_dual_mul_f32 v56, v87, v126
	v_mul_f32_e32 v48, v83, v128
	s_delay_alu instid0(VALU_DEP_4) | instskip(NEXT) | instid1(VALU_DEP_4)
	v_fmac_f32_e32 v16, 0x3e9e377a, v26
	v_fmamk_f32 v20, v19, 0x3f737871, v18
	v_fmac_f32_e32 v18, 0xbf737871, v19
	v_add_f32_e32 v12, v3, v109
	v_dual_sub_f32 v21, v146, v109 :: v_dual_fmac_f32 v2, 0x3e9e377a, v26
	s_delay_alu instid0(VALU_DEP_4) | instskip(NEXT) | instid1(VALU_DEP_4)
	v_dual_fmac_f32 v20, 0xbf167918, v17 :: v_dual_sub_f32 v3, v145, v143
	v_fmac_f32_e32 v18, 0x3f167918, v17
	v_sub_f32_e32 v26, v145, v146
	v_fmac_f32_e32 v56, v86, v125
	s_delay_alu instid0(VALU_DEP_4) | instskip(SKIP_2) | instid1(VALU_DEP_3)
	v_dual_mul_f32 v50, v93, v138 :: v_dual_add_f32 v21, v3, v21
	v_fma_f32 v3, -0.5, v27, v13
	v_dual_sub_f32 v27, v143, v109 :: v_dual_fmac_f32 v48, v82, v127
	v_fmac_f32_e32 v50, v92, v137
	s_delay_alu instid0(VALU_DEP_4)
	v_dual_fmac_f32 v18, 0x3e9e377a, v21 :: v_dual_fmac_f32 v75, v68, v44
	v_fma_f32 v44, v66, v142, -v24
	v_add_f32_e32 v24, v13, v144
	v_fmac_f32_e32 v20, 0x3e9e377a, v21
	v_dual_sub_f32 v68, v69, v72 :: v_dual_fmamk_f32 v17, v27, 0x3f737871, v3
	v_fmac_f32_e32 v3, 0xbf737871, v27
	s_delay_alu instid0(VALU_DEP_4) | instskip(SKIP_1) | instid1(VALU_DEP_4)
	v_dual_add_f32 v19, v24, v147 :: v_dual_sub_f32 v34, v25, v29
	v_mul_f32_e32 v61, v79, v130
	v_fmac_f32_e32 v17, 0x3f167918, v26
	s_delay_alu instid0(VALU_DEP_4) | instskip(NEXT) | instid1(VALU_DEP_4)
	v_fmac_f32_e32 v3, 0xbf167918, v26
	v_dual_add_f32 v24, v19, v22 :: v_dual_add_f32 v19, v144, v23
	v_sub_f32_e32 v22, v22, v23
	v_dual_add_f32 v36, v108, v25 :: v_dual_add_f32 v77, v90, v100
	s_delay_alu instid0(VALU_DEP_3) | instskip(NEXT) | instid1(VALU_DEP_4)
	v_fma_f32 v19, -0.5, v19, v13
	v_add_f32_e32 v13, v24, v23
	v_add_f32_e32 v24, v28, v30
	v_dual_sub_f32 v28, v147, v144 :: v_dual_add_f32 v23, v97, v29
	s_delay_alu instid0(VALU_DEP_4) | instskip(SKIP_1) | instid1(VALU_DEP_3)
	v_fmamk_f32 v21, v26, 0xbf737871, v19
	v_dual_add_f32 v30, v14, v108 :: v_dual_fmac_f32 v19, 0x3f737871, v26
	v_add_f32_e32 v28, v28, v22
	s_delay_alu instid0(VALU_DEP_4) | instskip(NEXT) | instid1(VALU_DEP_4)
	v_fma_f32 v22, -0.5, v23, v14
	v_fmac_f32_e32 v21, 0x3f167918, v27
	s_delay_alu instid0(VALU_DEP_4) | instskip(SKIP_2) | instid1(VALU_DEP_4)
	v_add_f32_e32 v23, v30, v97
	v_dual_sub_f32 v26, v108, v97 :: v_dual_fmac_f32 v19, 0xbf167918, v27
	v_fmac_f32_e32 v17, 0x3e9e377a, v24
	v_fmac_f32_e32 v21, 0x3e9e377a, v28
	s_delay_alu instid0(VALU_DEP_4) | instskip(NEXT) | instid1(VALU_DEP_4)
	v_add_f32_e32 v23, v23, v29
	v_add_f32_e32 v27, v26, v34
	v_dual_fmac_f32 v19, 0x3e9e377a, v28 :: v_dual_sub_f32 v34, v29, v25
	s_delay_alu instid0(VALU_DEP_3)
	v_dual_fmac_f32 v3, 0x3e9e377a, v24 :: v_dual_add_f32 v28, v23, v25
	v_sub_f32_e32 v23, v97, v108
	v_sub_f32_e32 v30, v98, v32
	v_fma_f32 v14, -0.5, v36, v14
	v_add_f32_e32 v36, v15, v96
	v_add_f32_e32 v70, v10, v75
	v_fmamk_f32 v24, v31, 0xbf737871, v22
	v_fmac_f32_e32 v22, 0x3f737871, v31
	v_dual_add_f32 v34, v23, v34 :: v_dual_fmac_f32 v57, v76, v51
	v_mul_f32_e32 v51, v81, v134
	s_delay_alu instid0(VALU_DEP_4)
	v_dual_fmac_f32 v61, v78, v129 :: v_dual_fmac_f32 v24, 0xbf167918, v30
	v_fmamk_f32 v26, v30, 0x3f737871, v14
	v_fmac_f32_e32 v22, 0x3f167918, v30
	v_fmac_f32_e32 v14, 0xbf737871, v30
	v_dual_add_f32 v30, v36, v98 :: v_dual_mul_f32 v53, v95, v132
	v_fmac_f32_e32 v24, 0x3e9e377a, v27
	v_sub_f32_e32 v36, v108, v25
	s_delay_alu instid0(VALU_DEP_4) | instskip(SKIP_2) | instid1(VALU_DEP_3)
	v_dual_fmac_f32 v14, 0x3f167918, v31 :: v_dual_fmac_f32 v51, v80, v133
	v_fmac_f32_e32 v22, 0x3e9e377a, v27
	v_fmac_f32_e32 v53, v94, v131
	v_dual_mul_f32 v41, v113, v136 :: v_dual_fmac_f32 v14, 0x3e9e377a, v34
	v_dual_add_f32 v27, v30, v32 :: v_dual_add_f32 v30, v96, v33
	v_fmac_f32_e32 v43, v64, v139
	s_delay_alu instid0(VALU_DEP_3)
	v_dual_fmac_f32 v41, v112, v135 :: v_dual_sub_f32 v64, v33, v32
	v_fmac_f32_e32 v26, 0xbf167918, v31
	v_fma_f32 v23, -0.5, v37, v15
	v_sub_f32_e32 v37, v96, v98
	v_mul_f32_e32 v45, v67, v142
	v_dual_fmac_f32 v15, -0.5, v30 :: v_dual_sub_f32 v30, v98, v96
	v_sub_f32_e32 v32, v32, v33
	v_fmac_f32_e32 v26, 0x3e9e377a, v34
	v_fmamk_f32 v25, v36, 0x3f737871, v23
	v_sub_f32_e32 v31, v97, v29
	v_dual_add_f32 v29, v27, v33 :: v_dual_add_f32 v34, v37, v64
	v_fmac_f32_e32 v45, v66, v141
	v_fmac_f32_e32 v23, 0xbf737871, v36
	v_add_f32_e32 v33, v89, v91
	v_dual_add_f32 v37, v30, v32 :: v_dual_add_f32 v32, v8, v99
	v_fmac_f32_e32 v25, 0x3f167918, v31
	v_fmamk_f32 v27, v31, 0xbf737871, v15
	v_fmac_f32_e32 v23, 0xbf167918, v31
	v_fma_f32 v30, -0.5, v33, v8
	v_sub_f32_e32 v33, v73, v69
	v_dual_fmac_f32 v15, 0x3f737871, v31 :: v_dual_sub_f32 v78, v61, v57
	v_dual_add_f32 v31, v32, v89 :: v_dual_add_f32 v66, v99, v35
	v_fmac_f32_e32 v25, 0x3e9e377a, v34
	v_fmac_f32_e32 v27, 0x3f167918, v36
	v_fmac_f32_e32 v23, 0x3e9e377a, v34
	v_fmamk_f32 v32, v33, 0xbf737871, v30
	v_sub_f32_e32 v64, v88, v72
	v_sub_f32_e32 v34, v99, v89
	;; [unrolled: 1-line block ×3, first 2 shown]
	v_fmac_f32_e32 v15, 0xbf167918, v36
	v_add_f32_e32 v31, v31, v91
	v_fma_f32 v36, -0.5, v66, v8
	v_fmac_f32_e32 v30, 0x3f737871, v33
	v_add_f32_e32 v66, v9, v73
	v_fmac_f32_e32 v27, 0x3e9e377a, v37
	v_dual_fmac_f32 v32, 0xbf167918, v64 :: v_dual_add_f32 v65, v34, v65
	v_dual_fmac_f32 v15, 0x3e9e377a, v37 :: v_dual_add_f32 v80, v55, v58
	v_add_f32_e32 v34, v31, v35
	v_dual_fmamk_f32 v8, v64, 0x3f737871, v36 :: v_dual_sub_f32 v31, v89, v99
	v_dual_sub_f32 v37, v91, v35 :: v_dual_fmac_f32 v30, 0x3f167918, v64
	v_add_f32_e32 v67, v88, v72
	v_fmac_f32_e32 v36, 0xbf737871, v64
	v_add_f32_e32 v64, v66, v88
	v_fmac_f32_e32 v8, 0xbf167918, v33
	v_add_f32_e32 v37, v31, v37
	v_fma_f32 v31, -0.5, v67, v9
	v_dual_sub_f32 v67, v99, v35 :: v_dual_fmac_f32 v36, 0x3f167918, v33
	v_dual_add_f32 v35, v64, v72 :: v_dual_add_f32 v64, v73, v69
	v_sub_f32_e32 v66, v73, v88
	v_fmac_f32_e32 v32, 0x3e9e377a, v65
	v_fmac_f32_e32 v30, 0x3e9e377a, v65
	;; [unrolled: 1-line block ×3, first 2 shown]
	v_fmamk_f32 v33, v67, 0x3f737871, v31
	v_dual_sub_f32 v65, v89, v91 :: v_dual_fmac_f32 v36, 0x3e9e377a, v37
	v_fma_f32 v37, -0.5, v64, v9
	v_dual_add_f32 v35, v35, v69 :: v_dual_add_f32 v66, v66, v68
	v_dual_fmac_f32 v31, 0xbf737871, v67 :: v_dual_sub_f32 v64, v88, v73
	v_dual_sub_f32 v68, v72, v69 :: v_dual_add_f32 v69, v63, v71
	v_fmac_f32_e32 v33, 0x3f167918, v65
	v_fmamk_f32 v9, v65, 0xbf737871, v37
	s_delay_alu instid0(VALU_DEP_3) | instskip(NEXT) | instid1(VALU_DEP_4)
	v_dual_fmac_f32 v31, 0xbf167918, v65 :: v_dual_add_f32 v68, v64, v68
	v_fma_f32 v64, -0.5, v69, v10
	v_sub_f32_e32 v69, v62, v101
	v_fmac_f32_e32 v37, 0x3f737871, v65
	v_dual_add_f32 v65, v70, v63 :: v_dual_add_f32 v76, v75, v74
	v_fmac_f32_e32 v33, 0x3e9e377a, v66
	v_fmac_f32_e32 v9, 0x3f167918, v67
	;; [unrolled: 1-line block ×3, first 2 shown]
	v_fmamk_f32 v66, v69, 0xbf737871, v64
	v_sub_f32_e32 v72, v90, v100
	v_sub_f32_e32 v70, v75, v63
	;; [unrolled: 1-line block ×3, first 2 shown]
	v_fmac_f32_e32 v37, 0xbf167918, v67
	v_add_f32_e32 v65, v65, v71
	v_fma_f32 v10, -0.5, v76, v10
	v_fmac_f32_e32 v64, 0x3f737871, v69
	v_dual_add_f32 v76, v11, v62 :: v_dual_fmac_f32 v9, 0x3e9e377a, v68
	v_dual_fmac_f32 v66, 0xbf167918, v72 :: v_dual_add_f32 v67, v70, v73
	v_dual_fmac_f32 v37, 0x3e9e377a, v68 :: v_dual_add_f32 v68, v65, v74
	v_dual_fmamk_f32 v70, v72, 0x3f737871, v10 :: v_dual_sub_f32 v65, v63, v75
	v_dual_sub_f32 v73, v71, v74 :: v_dual_fmac_f32 v64, 0x3f167918, v72
	v_fmac_f32_e32 v10, 0xbf737871, v72
	v_add_f32_e32 v72, v76, v90
	s_delay_alu instid0(VALU_DEP_4) | instskip(NEXT) | instid1(VALU_DEP_4)
	v_fmac_f32_e32 v70, 0xbf167918, v69
	v_add_f32_e32 v73, v65, v73
	v_fma_f32 v65, -0.5, v77, v11
	v_sub_f32_e32 v74, v75, v74
	v_dual_fmac_f32 v10, 0x3f167918, v69 :: v_dual_add_f32 v69, v72, v100
	v_add_f32_e32 v72, v62, v101
	v_fmac_f32_e32 v66, 0x3e9e377a, v67
	v_fmac_f32_e32 v64, 0x3e9e377a, v67
	v_fmamk_f32 v67, v74, 0x3f737871, v65
	v_sub_f32_e32 v63, v63, v71
	v_sub_f32_e32 v71, v62, v90
	;; [unrolled: 1-line block ×3, first 2 shown]
	v_fmac_f32_e32 v11, -0.5, v72
	v_dual_fmac_f32 v65, 0xbf737871, v74 :: v_dual_add_f32 v76, v4, v60
	v_fmac_f32_e32 v70, 0x3e9e377a, v73
	v_fmac_f32_e32 v10, 0x3e9e377a, v73
	;; [unrolled: 1-line block ×3, first 2 shown]
	v_add_f32_e32 v72, v71, v75
	v_dual_fmamk_f32 v71, v63, 0xbf737871, v11 :: v_dual_sub_f32 v62, v90, v62
	v_sub_f32_e32 v73, v100, v101
	v_fmac_f32_e32 v65, 0xbf167918, v63
	v_fmac_f32_e32 v11, 0x3f737871, v63
	v_add_f32_e32 v63, v76, v56
	v_add_f32_e32 v75, v56, v57
	v_fmac_f32_e32 v71, 0x3f167918, v74
	v_add_f32_e32 v73, v62, v73
	v_add_f32_e32 v79, v60, v61
	v_fmac_f32_e32 v11, 0xbf167918, v74
	v_add_f32_e32 v63, v63, v57
	v_fma_f32 v62, -0.5, v75, v4
	v_sub_f32_e32 v75, v54, v59
	v_fmac_f32_e32 v71, 0x3e9e377a, v73
	v_dual_sub_f32 v77, v55, v58 :: v_dual_sub_f32 v76, v60, v56
	v_fma_f32 v4, -0.5, v79, v4
	v_fmac_f32_e32 v11, 0x3e9e377a, v73
	v_dual_add_f32 v74, v63, v61 :: v_dual_sub_f32 v63, v56, v60
	v_sub_f32_e32 v73, v57, v61
	v_add_f32_e32 v79, v5, v54
	v_fmac_f32_e32 v67, 0x3e9e377a, v72
	v_fmac_f32_e32 v65, 0x3e9e377a, v72
	v_fmamk_f32 v72, v75, 0xbf737871, v62
	v_add_f32_e32 v78, v76, v78
	v_fmac_f32_e32 v62, 0x3f737871, v75
	v_dual_fmamk_f32 v76, v77, 0x3f737871, v4 :: v_dual_add_f32 v81, v63, v73
	v_dual_fmac_f32 v4, 0xbf737871, v77 :: v_dual_add_f32 v73, v79, v55
	v_fma_f32 v63, -0.5, v80, v5
	v_sub_f32_e32 v60, v60, v61
	v_fmac_f32_e32 v72, 0xbf167918, v77
	v_fmac_f32_e32 v62, 0x3f167918, v77
	;; [unrolled: 1-line block ×3, first 2 shown]
	v_dual_fmac_f32 v4, 0x3f167918, v75 :: v_dual_add_f32 v61, v73, v58
	v_fmamk_f32 v73, v60, 0x3f737871, v63
	v_dual_add_f32 v75, v54, v59 :: v_dual_sub_f32 v56, v56, v57
	v_sub_f32_e32 v57, v54, v55
	v_sub_f32_e32 v77, v59, v58
	v_fmac_f32_e32 v63, 0xbf737871, v60
	s_delay_alu instid0(VALU_DEP_4)
	v_fma_f32 v5, -0.5, v75, v5
	v_add_f32_e32 v75, v61, v59
	v_fmac_f32_e32 v73, 0x3f167918, v56
	v_dual_add_f32 v57, v57, v77 :: v_dual_sub_f32 v54, v55, v54
	v_sub_f32_e32 v55, v58, v59
	v_fmac_f32_e32 v63, 0xbf167918, v56
	v_add_f32_e32 v59, v6, v51
	v_fmamk_f32 v77, v56, 0xbf737871, v5
	v_dual_fmac_f32 v73, 0x3e9e377a, v57 :: v_dual_add_f32 v58, v48, v50
	s_delay_alu instid0(VALU_DEP_4)
	v_fmac_f32_e32 v63, 0x3e9e377a, v57
	v_fmac_f32_e32 v5, 0x3f737871, v56
	v_dual_add_f32 v57, v59, v48 :: v_dual_fmac_f32 v72, 0x3e9e377a, v78
	v_fmac_f32_e32 v62, 0x3e9e377a, v78
	v_fmac_f32_e32 v77, 0x3f167918, v60
	v_add_f32_e32 v55, v54, v55
	v_fma_f32 v54, -0.5, v58, v6
	v_sub_f32_e32 v61, v46, v52
	v_sub_f32_e32 v58, v51, v48
	v_dual_sub_f32 v78, v53, v50 :: v_dual_add_f32 v79, v51, v53
	v_fmac_f32_e32 v5, 0xbf167918, v60
	v_add_f32_e32 v57, v57, v50
	v_fmac_f32_e32 v77, 0x3e9e377a, v55
	v_dual_fmamk_f32 v56, v61, 0xbf737871, v54 :: v_dual_sub_f32 v59, v47, v49
	v_add_f32_e32 v78, v58, v78
	v_fma_f32 v6, -0.5, v79, v6
	v_dual_fmac_f32 v5, 0x3e9e377a, v55 :: v_dual_add_f32 v58, v57, v53
	v_dual_fmac_f32 v54, 0x3f737871, v61 :: v_dual_sub_f32 v55, v48, v51
	v_sub_f32_e32 v57, v50, v53
	v_add_f32_e32 v79, v7, v46
	v_add_f32_e32 v80, v47, v49
	v_fmac_f32_e32 v76, 0x3e9e377a, v81
	v_fmac_f32_e32 v4, 0x3e9e377a, v81
	;; [unrolled: 1-line block ×3, first 2 shown]
	v_fmamk_f32 v60, v59, 0x3f737871, v6
	v_dual_fmac_f32 v54, 0x3f167918, v59 :: v_dual_add_f32 v81, v55, v57
	v_fmac_f32_e32 v6, 0xbf737871, v59
	v_add_f32_e32 v57, v79, v47
	v_fma_f32 v55, -0.5, v80, v7
	v_sub_f32_e32 v51, v51, v53
	v_dual_add_f32 v59, v46, v52 :: v_dual_fmac_f32 v60, 0xbf167918, v61
	v_fmac_f32_e32 v6, 0x3f167918, v61
	v_add_f32_e32 v53, v57, v49
	s_delay_alu instid0(VALU_DEP_4)
	v_dual_fmamk_f32 v57, v51, 0x3f737871, v55 :: v_dual_sub_f32 v48, v48, v50
	v_dual_sub_f32 v50, v46, v47 :: v_dual_sub_f32 v61, v52, v49
	v_fmac_f32_e32 v7, -0.5, v59
	v_dual_fmac_f32 v55, 0xbf737871, v51 :: v_dual_sub_f32 v46, v47, v46
	v_sub_f32_e32 v47, v49, v52
	v_add_f32_e32 v49, v40, v43
	v_dual_fmac_f32 v57, 0x3f167918, v48 :: v_dual_add_f32 v50, v50, v61
	v_fmamk_f32 v61, v48, 0xbf737871, v7
	v_fmac_f32_e32 v55, 0xbf167918, v48
	v_add_f32_e32 v47, v46, v47
	v_dual_fmac_f32 v7, 0x3f737871, v48 :: v_dual_add_f32 v48, v0, v41
	v_fma_f32 v46, -0.5, v49, v0
	v_dual_sub_f32 v49, v38, v44 :: v_dual_fmac_f32 v56, 0x3e9e377a, v78
	v_fmac_f32_e32 v54, 0x3e9e377a, v78
	v_fmac_f32_e32 v6, 0x3e9e377a, v81
	v_add_f32_e32 v69, v69, v101
	v_add_f32_e32 v59, v53, v52
	v_fmac_f32_e32 v57, 0x3e9e377a, v50
	v_fmac_f32_e32 v61, 0x3f167918, v51
	;; [unrolled: 1-line block ×3, first 2 shown]
	v_dual_fmac_f32 v7, 0xbf167918, v51 :: v_dual_add_f32 v50, v48, v40
	v_dual_fmamk_f32 v48, v49, 0xbf737871, v46 :: v_dual_sub_f32 v51, v39, v42
	v_sub_f32_e32 v52, v41, v40
	v_dual_sub_f32 v53, v45, v43 :: v_dual_fmac_f32 v46, 0x3f737871, v49
	v_add_f32_e32 v78, v41, v45
	v_add_f32_e32 v50, v50, v43
	v_fmac_f32_e32 v48, 0xbf167918, v51
	s_delay_alu instid0(VALU_DEP_4)
	v_add_f32_e32 v52, v52, v53
	v_fmac_f32_e32 v46, 0x3f167918, v51
	v_fma_f32 v0, -0.5, v78, v0
	v_sub_f32_e32 v53, v40, v41
	v_dual_sub_f32 v78, v43, v45 :: v_dual_fmac_f32 v61, 0x3e9e377a, v47
	v_dual_fmac_f32 v7, 0x3e9e377a, v47 :: v_dual_add_f32 v50, v50, v45
	v_fmac_f32_e32 v48, 0x3e9e377a, v52
	v_fmac_f32_e32 v46, 0x3e9e377a, v52
	v_fmamk_f32 v52, v51, 0x3f737871, v0
	v_dual_add_f32 v47, v39, v42 :: v_dual_fmac_f32 v0, 0xbf737871, v51
	v_add_f32_e32 v51, v1, v38
	v_sub_f32_e32 v41, v41, v45
	v_add_f32_e32 v45, v53, v78
	v_add_f32_e32 v53, v38, v44
	v_fma_f32 v47, -0.5, v47, v1
	v_fmac_f32_e32 v52, 0xbf167918, v49
	v_dual_fmac_f32 v0, 0x3f167918, v49 :: v_dual_add_f32 v51, v51, v39
	s_delay_alu instid0(VALU_DEP_4) | instskip(NEXT) | instid1(VALU_DEP_4)
	v_dual_sub_f32 v40, v40, v43 :: v_dual_fmac_f32 v1, -0.5, v53
	v_fmamk_f32 v49, v41, 0x3f737871, v47
	s_delay_alu instid0(VALU_DEP_4) | instskip(NEXT) | instid1(VALU_DEP_4)
	v_fmac_f32_e32 v52, 0x3e9e377a, v45
	v_dual_fmac_f32 v0, 0x3e9e377a, v45 :: v_dual_add_f32 v43, v51, v42
	v_sub_f32_e32 v45, v38, v39
	v_sub_f32_e32 v51, v44, v42
	v_fmac_f32_e32 v47, 0xbf737871, v41
	v_dual_fmamk_f32 v53, v40, 0xbf737871, v1 :: v_dual_sub_f32 v38, v39, v38
	v_sub_f32_e32 v39, v42, v44
	v_fmac_f32_e32 v1, 0x3f737871, v40
	v_dual_fmac_f32 v49, 0x3f167918, v40 :: v_dual_add_f32 v42, v45, v51
	v_fmac_f32_e32 v47, 0xbf167918, v40
	s_delay_alu instid0(VALU_DEP_4) | instskip(NEXT) | instid1(VALU_DEP_4)
	v_dual_fmac_f32 v53, 0x3f167918, v41 :: v_dual_add_f32 v38, v38, v39
	v_fmac_f32_e32 v1, 0xbf167918, v41
	v_dual_fmac_f32 v60, 0x3e9e377a, v81 :: v_dual_add_f32 v51, v43, v44
	v_fmac_f32_e32 v49, 0x3e9e377a, v42
	v_fmac_f32_e32 v47, 0x3e9e377a, v42
	v_fmac_f32_e32 v53, 0x3e9e377a, v38
	v_fmac_f32_e32 v1, 0x3e9e377a, v38
	ds_store_b64 v255, v[16:17] offset:3136
	ds_store_b64 v255, v[20:21] offset:6272
	;; [unrolled: 1-line block ×4, first 2 shown]
	ds_store_2addr_b64 v255, v[12:13], v[28:29] offset1:56
	ds_store_b64 v255, v[26:27] offset:6720
	ds_store_b64 v255, v[14:15] offset:9856
	;; [unrolled: 1-line block ×3, first 2 shown]
	ds_store_2addr_b64 v119, v[24:25], v[32:33] offset0:192 offset1:248
	ds_store_b64 v255, v[36:37] offset:10304
	ds_store_b64 v255, v[30:31] offset:13440
	ds_store_2addr_b64 v255, v[34:35], v[68:69] offset0:112 offset1:168
	ds_store_2addr_b64 v118, v[8:9], v[70:71] offset0:128 offset1:184
	ds_store_b64 v255, v[10:11] offset:10752
	ds_store_b64 v255, v[64:65] offset:13888
	ds_store_2addr_b64 v123, v[66:67], v[72:73] offset0:48 offset1:104
	ds_store_b64 v255, v[4:5] offset:11200
	ds_store_b64 v255, v[62:63] offset:14336
	ds_store_2addr_b64 v122, v[74:75], v[58:59] offset0:96 offset1:152
	ds_store_2addr_b64 v124, v[76:77], v[60:61] offset0:112 offset1:168
	ds_store_b64 v255, v[54:55] offset:14784
	ds_store_b64 v255, v[6:7] offset:11648
	;; [unrolled: 1-line block ×3, first 2 shown]
	ds_store_2addr_b64 v123, v[56:57], v[48:49] offset0:160 offset1:216
	ds_store_b64 v255, v[52:53] offset:8960
	ds_store_b64 v255, v[0:1] offset:12096
	ds_store_b64 v255, v[46:47] offset:15232
	v_add_nc_u32_e32 v4, 0xc00, v255
	global_wb scope:SCOPE_SE
	s_wait_dscnt 0x0
	s_barrier_signal -1
	s_barrier_wait -1
	global_inv scope:SCOPE_SE
	ds_load_2addr_b64 v[0:3], v255 offset1:56
	ds_load_2addr_b64 v[4:7], v4 offset0:106 offset1:162
	ds_load_2addr_b64 v[8:11], v124 offset0:84 offset1:140
	;; [unrolled: 1-line block ×3, first 2 shown]
	s_clause 0x6
	scratch_load_b64 v[19:20], off, off offset:232 th:TH_LOAD_LU
	scratch_load_b64 v[21:22], off, off offset:256 th:TH_LOAD_LU
	;; [unrolled: 1-line block ×7, first 2 shown]
	s_wait_loadcnt_dscnt 0x603
	v_mul_f32_e32 v16, v20, v1
	s_wait_loadcnt_dscnt 0x502
	v_dual_mul_f32 v18, v22, v5 :: v_dual_mul_f32 v17, v20, v0
	s_wait_loadcnt_dscnt 0x201
	v_dual_mul_f32 v20, v25, v9 :: v_dual_mul_f32 v33, v39, v3
	s_wait_loadcnt 0x1
	v_mul_f32_e32 v42, v45, v11
	v_fmac_f32_e32 v18, v21, v4
	v_mul_f32_e32 v4, v22, v4
	v_fmac_f32_e32 v20, v24, v8
	v_fmac_f32_e32 v16, v19, v0
	v_fma_f32 v17, v19, v1, -v17
	v_cvt_f64_f32_e32 v[18:19], v18
	v_fma_f32 v4, v21, v5, -v4
	v_mul_f32_e32 v21, v25, v8
	scratch_load_b64 v[25:26], off, off offset:272 th:TH_LOAD_LU ; 8-byte Folded Reload
	v_cvt_f64_f32_e32 v[0:1], v16
	v_cvt_f64_f32_e32 v[16:17], v17
	;; [unrolled: 1-line block ×3, first 2 shown]
	v_fma_f32 v21, v24, v9, -v21
	v_cvt_f64_f32_e32 v[8:9], v20
	v_fmac_f32_e32 v33, v38, v2
	v_mul_f32_e32 v2, v39, v2
	scratch_load_b64 v[39:40], off, off offset:224 th:TH_LOAD_LU ; 8-byte Folded Reload
	v_fmac_f32_e32 v42, v44, v10
	v_cvt_f64_f32_e32 v[33:34], v33
	v_fma_f32 v2, v38, v3, -v2
	s_delay_alu instid0(VALU_DEP_3)
	v_cvt_f64_f32_e32 v[42:43], v42
	s_wait_alu 0xfffe
	v_mul_f64_e32 v[31:32], s[2:3], v[18:19]
	v_mul_f64_e32 v[0:1], s[2:3], v[0:1]
	;; [unrolled: 1-line block ×4, first 2 shown]
	s_delay_alu instid0(VALU_DEP_3) | instskip(NEXT) | instid1(VALU_DEP_2)
	v_cvt_f32_f64_e32 v0, v[0:1]
	v_cvt_f32_f64_e32 v8, v[8:9]
	s_wait_loadcnt_dscnt 0x100
	v_mul_f32_e32 v22, v26, v13
	v_mul_f32_e32 v23, v26, v12
	v_mad_co_u64_u32 v[26:27], null, s4, v226, 0
	s_delay_alu instid0(VALU_DEP_3) | instskip(NEXT) | instid1(VALU_DEP_3)
	v_fmac_f32_e32 v22, v25, v12
	v_fma_f32 v23, v25, v13, -v23
	scratch_load_b64 v[24:25], off, off offset:176 th:TH_LOAD_LU ; 8-byte Folded Reload
	v_cvt_f64_f32_e32 v[12:13], v21
	s_wait_loadcnt 0x1
	v_mul_f32_e32 v37, v40, v6
	v_cvt_f64_f32_e32 v[20:21], v22
	v_cvt_f64_f32_e32 v[22:23], v23
	s_delay_alu instid0(VALU_DEP_3) | instskip(SKIP_1) | instid1(VALU_DEP_4)
	v_fma_f32 v3, v39, v7, -v37
	v_mul_f64_e32 v[12:13], s[2:3], v[12:13]
	v_mul_f64_e32 v[20:21], s[2:3], v[20:21]
	s_delay_alu instid0(VALU_DEP_4) | instskip(NEXT) | instid1(VALU_DEP_3)
	v_mul_f64_e32 v[22:23], s[2:3], v[22:23]
	v_cvt_f32_f64_e32 v9, v[12:13]
	s_delay_alu instid0(VALU_DEP_3) | instskip(NEXT) | instid1(VALU_DEP_3)
	v_cvt_f32_f64_e32 v12, v[20:21]
	v_cvt_f32_f64_e32 v13, v[22:23]
	v_mul_f64_e32 v[20:21], s[2:3], v[33:34]
	s_wait_loadcnt 0x0
	v_mov_b32_e32 v28, v24
	s_delay_alu instid0(VALU_DEP_1) | instskip(NEXT) | instid1(VALU_DEP_1)
	v_mad_co_u64_u32 v[24:25], null, s6, v28, 0
	v_mad_co_u64_u32 v[28:29], null, s7, v28, v[25:26]
	v_mov_b32_e32 v25, v27
	v_mul_f32_e32 v27, v40, v7
	v_mul_f64_e32 v[29:30], s[2:3], v[16:17]
	ds_load_2addr_b64 v[16:19], v255 offset0:112 offset1:168
	v_cvt_f64_f32_e32 v[40:41], v3
	v_mad_co_u64_u32 v[35:36], null, s5, v226, v[25:26]
	v_fmac_f32_e32 v27, v39, v6
	v_mul_f32_e32 v6, v45, v10
	v_cvt_f64_f32_e32 v[36:37], v2
	s_mul_u64 s[6:7], s[4:5], 0x1ea
	s_delay_alu instid0(VALU_DEP_3) | instskip(NEXT) | instid1(VALU_DEP_3)
	v_cvt_f64_f32_e32 v[38:39], v27
	v_fma_f32 v2, v44, v11, -v6
	scratch_load_b64 v[44:45], off, off offset:208 th:TH_LOAD_LU ; 8-byte Folded Reload
	v_mul_f32_e32 v6, v47, v14
	v_mul_f32_e32 v3, v47, v15
	v_mov_b32_e32 v27, v35
	v_cvt_f64_f32_e32 v[10:11], v2
	s_wait_alu 0xfffe
	s_lshl_b64 s[6:7], s[6:7], 3
	v_fma_f32 v2, v46, v15, -v6
	v_fmac_f32_e32 v3, v46, v14
	v_mul_f64_e32 v[34:35], s[2:3], v[42:43]
	s_delay_alu instid0(VALU_DEP_2)
	v_cvt_f64_f32_e32 v[14:15], v3
	v_cvt_f32_f64_e32 v1, v[29:30]
	v_mul_f64_e32 v[22:23], s[2:3], v[36:37]
	v_mul_f64_e32 v[36:37], s[2:3], v[10:11]
	s_wait_loadcnt_dscnt 0x0
	v_mul_f32_e32 v25, v45, v16
	v_mul_f32_e32 v7, v45, v17
	s_delay_alu instid0(VALU_DEP_2) | instskip(SKIP_1) | instid1(VALU_DEP_3)
	v_fma_f32 v6, v44, v17, -v25
	v_mov_b32_e32 v25, v28
	v_fmac_f32_e32 v7, v44, v16
	v_cvt_f64_f32_e32 v[16:17], v2
	v_mul_f64_e32 v[28:29], s[2:3], v[38:39]
	v_cvt_f64_f32_e32 v[46:47], v6
	v_lshlrev_b64_e32 v[2:3], 3, v[24:25]
	v_lshlrev_b64_e32 v[24:25], 3, v[26:27]
	v_cvt_f32_f64_e32 v26, v[31:32]
	v_cvt_f32_f64_e32 v27, v[4:5]
	v_cvt_f64_f32_e32 v[44:45], v7
	ds_load_2addr_b64 v[4:7], v123 offset0:90 offset1:146
	v_add_co_u32 v2, s0, s10, v2
	s_wait_alu 0xf1ff
	v_add_co_ci_u32_e64 v3, s0, s11, v3, s0
	v_mul_f64_e32 v[30:31], s[2:3], v[40:41]
	s_delay_alu instid0(VALU_DEP_3) | instskip(SKIP_1) | instid1(VALU_DEP_3)
	v_add_co_u32 v24, s0, v2, v24
	s_wait_alu 0xf1ff
	v_add_co_ci_u32_e64 v25, s0, v3, v25, s0
	v_mul_f64_e32 v[38:39], s[2:3], v[14:15]
	s_wait_alu 0xfffe
	v_add_co_u32 v32, s0, v24, s6
	s_wait_alu 0xf1ff
	v_add_co_ci_u32_e64 v33, s0, s7, v25, s0
	s_delay_alu instid0(VALU_DEP_2) | instskip(SKIP_1) | instid1(VALU_DEP_2)
	v_add_co_u32 v10, s0, v32, s6
	s_wait_alu 0xf1ff
	v_add_co_ci_u32_e64 v11, s0, s7, v33, s0
	s_wait_dscnt 0x0
	v_mul_f32_e32 v48, v50, v5
	s_delay_alu instid0(VALU_DEP_1) | instskip(SKIP_2) | instid1(VALU_DEP_2)
	v_fmac_f32_e32 v48, v49, v4
	v_mul_f32_e32 v4, v50, v4
	v_mul_f64_e32 v[16:17], s[2:3], v[16:17]
	v_fma_f32 v4, v49, v5, -v4
	v_mul_f64_e32 v[42:43], s[2:3], v[46:47]
	v_add_co_u32 v46, s0, v10, s6
	s_wait_alu 0xf1ff
	v_add_co_ci_u32_e64 v47, s0, s7, v11, s0
	s_movk_i32 s0, 0xd3d0
	s_mov_b32 s1, -1
	s_clause 0x3
	global_store_b64 v[24:25], v[0:1], off
	global_store_b64 v[32:33], v[26:27], off
	global_store_b64 v[10:11], v[8:9], off
	global_store_b64 v[46:47], v[12:13], off
	s_wait_alu 0xfffe
	s_mul_u64 s[8:9], s[4:5], s[0:1]
	v_cvt_f32_f64_e32 v1, v[22:23]
	s_wait_alu 0xfffe
	v_add_co_u32 v24, s0, v46, s8
	s_wait_alu 0xf1ff
	v_add_co_ci_u32_e64 v25, s0, s9, v47, s0
	s_clause 0x1
	scratch_load_b64 v[22:23], off, off offset:184 th:TH_LOAD_LU
	scratch_load_b64 v[46:47], off, off offset:144 th:TH_LOAD_LU
	v_mul_f64_e32 v[40:41], s[2:3], v[44:45]
	v_cvt_f64_f32_e32 v[44:45], v48
	ds_load_2addr_b64 v[12:15], v120 offset0:46 offset1:102
	v_cvt_f32_f64_e32 v27, v[30:31]
	v_cvt_f32_f64_e32 v30, v[34:35]
	;; [unrolled: 1-line block ×3, first 2 shown]
	v_cvt_f64_f32_e32 v[36:37], v4
	ds_load_2addr_b64 v[8:11], v121 offset0:68 offset1:124
	v_cvt_f32_f64_e32 v0, v[20:21]
	v_cvt_f32_f64_e32 v26, v[28:29]
	;; [unrolled: 1-line block ×3, first 2 shown]
	v_add_co_u32 v28, s0, v24, s6
	s_wait_alu 0xf1ff
	v_add_co_ci_u32_e64 v29, s0, s7, v25, s0
	s_clause 0x1
	scratch_load_b64 v[50:51], off, off offset:128 th:TH_LOAD_LU
	scratch_load_b64 v[56:57], off, off offset:136 th:TH_LOAD_LU
	v_cvt_f32_f64_e32 v33, v[16:17]
	v_cvt_f32_f64_e32 v17, v[42:43]
	;; [unrolled: 1-line block ×3, first 2 shown]
	v_mul_f64_e32 v[34:35], s[2:3], v[44:45]
	scratch_load_b64 v[44:45], off, off offset:112 th:TH_LOAD_LU ; 8-byte Folded Reload
	s_wait_loadcnt_dscnt 0x400
	v_mul_f32_e32 v20, v23, v9
	s_wait_loadcnt 0x3
	v_mul_f32_e32 v5, v47, v13
	v_mul_f32_e32 v4, v47, v12
	scratch_load_b64 v[47:48], off, off offset:120 th:TH_LOAD_LU ; 8-byte Folded Reload
	v_mul_f32_e32 v21, v23, v8
	v_fmac_f32_e32 v20, v22, v8
	v_fmac_f32_e32 v5, v46, v12
	v_fma_f32 v4, v46, v13, -v4
	s_delay_alu instid0(VALU_DEP_4) | instskip(NEXT) | instid1(VALU_DEP_4)
	v_fma_f32 v8, v22, v9, -v21
	v_cvt_f64_f32_e32 v[38:39], v20
	s_delay_alu instid0(VALU_DEP_4) | instskip(NEXT) | instid1(VALU_DEP_4)
	v_cvt_f64_f32_e32 v[42:43], v5
	v_cvt_f64_f32_e32 v[12:13], v4
	ds_load_2addr_b64 v[20:23], v122 offset0:96 offset1:152
	v_cvt_f64_f32_e32 v[40:41], v8
	s_wait_loadcnt 0x1
	v_mul_f32_e32 v9, v45, v18
	v_mul_f32_e32 v8, v45, v19
	s_delay_alu instid0(VALU_DEP_2) | instskip(NEXT) | instid1(VALU_DEP_2)
	v_fma_f32 v5, v44, v19, -v9
	v_fmac_f32_e32 v8, v44, v18
	s_delay_alu instid0(VALU_DEP_2) | instskip(NEXT) | instid1(VALU_DEP_2)
	v_cvt_f64_f32_e32 v[44:45], v5
	v_cvt_f64_f32_e32 v[18:19], v8
	v_mul_f32_e32 v5, v51, v11
	s_delay_alu instid0(VALU_DEP_1) | instskip(NEXT) | instid1(VALU_DEP_3)
	v_fmac_f32_e32 v5, v50, v10
	v_mul_f64_e32 v[18:19], s[2:3], v[18:19]
	s_delay_alu instid0(VALU_DEP_1) | instskip(SKIP_3) | instid1(VALU_DEP_2)
	v_cvt_f32_f64_e32 v18, v[18:19]
	s_wait_loadcnt 0x0
	v_mul_f32_e32 v9, v48, v7
	v_mul_f32_e32 v46, v48, v6
	v_fmac_f32_e32 v9, v47, v6
	s_delay_alu instid0(VALU_DEP_2) | instskip(SKIP_1) | instid1(VALU_DEP_3)
	v_fma_f32 v4, v47, v7, -v46
	v_dual_mul_f32 v6, v51, v10 :: v_dual_mul_f32 v7, v57, v15
	v_cvt_f64_f32_e32 v[46:47], v9
	scratch_load_b64 v[9:10], off, off offset:216 th:TH_LOAD_LU ; 8-byte Folded Reload
	v_cvt_f64_f32_e32 v[48:49], v4
	v_fma_f32 v4, v50, v11, -v6
	v_fmac_f32_e32 v7, v56, v14
	v_cvt_f64_f32_e32 v[50:51], v5
	v_mul_f32_e32 v6, v57, v14
	v_add_co_u32 v14, s0, v28, s6
	v_cvt_f64_f32_e32 v[52:53], v4
	v_cvt_f64_f32_e32 v[54:55], v7
	s_delay_alu instid0(VALU_DEP_4)
	v_fma_f32 v4, v56, v15, -v6
	s_wait_alu 0xf1ff
	v_add_co_ci_u32_e64 v15, s0, s7, v29, s0
	global_store_b64 v[24:25], v[0:1], off
	global_store_b64 v[28:29], v[26:27], off
	v_add_co_u32 v26, s0, v14, s6
	v_cvt_f64_f32_e32 v[0:1], v4
	s_wait_alu 0xf1ff
	v_add_co_ci_u32_e64 v27, s0, s7, v15, s0
	s_delay_alu instid0(VALU_DEP_3) | instskip(SKIP_1) | instid1(VALU_DEP_2)
	v_add_co_u32 v28, s0, v26, s8
	s_wait_alu 0xf1ff
	v_add_co_ci_u32_e64 v29, s0, s9, v27, s0
	s_delay_alu instid0(VALU_DEP_4) | instskip(SKIP_3) | instid1(VALU_DEP_2)
	v_mul_f64_e32 v[0:1], s[2:3], v[0:1]
	s_wait_loadcnt_dscnt 0x0
	v_mul_f32_e32 v5, v10, v20
	v_mul_f32_e32 v8, v10, v21
	v_fma_f32 v4, v9, v21, -v5
	s_delay_alu instid0(VALU_DEP_2) | instskip(NEXT) | instid1(VALU_DEP_2)
	v_fmac_f32_e32 v8, v9, v20
	v_cvt_f64_f32_e32 v[20:21], v4
	v_add_nc_u32_e32 v4, 0x1400, v255
	s_delay_alu instid0(VALU_DEP_3)
	v_cvt_f64_f32_e32 v[24:25], v8
	ds_load_2addr_b64 v[8:11], v121 offset0:180 offset1:236
	ds_load_2addr_b64 v[4:7], v4 offset0:74 offset1:130
	global_store_b64 v[14:15], v[30:31], off
	global_store_b64 v[26:27], v[32:33], off
	;; [unrolled: 1-line block ×3, first 2 shown]
	v_cvt_f32_f64_e32 v16, v[34:35]
	v_mul_f64_e32 v[30:31], s[2:3], v[38:39]
	v_mul_f64_e32 v[32:33], s[2:3], v[40:41]
	;; [unrolled: 1-line block ×9, first 2 shown]
	s_clause 0x2
	scratch_load_b64 v[51:52], off, off offset:200 th:TH_LOAD_LU
	scratch_load_b64 v[57:58], off, off offset:152 th:TH_LOAD_LU
	;; [unrolled: 1-line block ×3, first 2 shown]
	v_mul_f64_e32 v[26:27], s[2:3], v[36:37]
	v_mul_f64_e32 v[36:37], s[2:3], v[12:13]
	ds_load_2addr_b64 v[12:15], v120 offset0:158 offset1:214
	v_add_co_u32 v28, s0, v28, s6
	s_wait_alu 0xf1ff
	v_add_co_ci_u32_e64 v29, s0, s7, v29, s0
	v_mul_f64_e32 v[24:25], s[2:3], v[24:25]
	v_cvt_f32_f64_e32 v30, v[30:31]
	v_cvt_f32_f64_e32 v31, v[32:33]
	;; [unrolled: 1-line block ×4, first 2 shown]
	v_add_co_u32 v32, s0, v28, s6
	v_cvt_f32_f64_e32 v38, v[44:45]
	v_cvt_f32_f64_e32 v39, v[46:47]
	s_wait_alu 0xf1ff
	v_add_co_ci_u32_e64 v33, s0, s7, v29, s0
	v_cvt_f32_f64_e32 v35, v[36:37]
	v_cvt_f32_f64_e32 v36, v[40:41]
	;; [unrolled: 1-line block ×6, first 2 shown]
	v_add_co_u32 v24, s0, v32, s6
	s_wait_alu 0xf1ff
	v_add_co_ci_u32_e64 v25, s0, s7, v33, s0
	s_delay_alu instid0(VALU_DEP_2) | instskip(SKIP_1) | instid1(VALU_DEP_2)
	v_add_co_u32 v44, s0, v24, s8
	s_wait_alu 0xf1ff
	v_add_co_ci_u32_e64 v45, s0, s9, v25, s0
	s_delay_alu instid0(VALU_DEP_2) | instskip(SKIP_1) | instid1(VALU_DEP_2)
	v_add_co_u32 v48, s0, v44, s6
	s_wait_alu 0xf1ff
	v_add_co_ci_u32_e64 v49, s0, s7, v45, s0
	s_wait_loadcnt_dscnt 0x201
	v_mul_f32_e32 v17, v52, v5
	v_mul_f32_e32 v50, v52, v4
	s_wait_loadcnt 0x0
	v_mul_f32_e32 v52, v55, v9
	s_delay_alu instid0(VALU_DEP_3) | instskip(NEXT) | instid1(VALU_DEP_3)
	v_fmac_f32_e32 v17, v51, v4
	v_fma_f32 v50, v51, v5, -v50
	s_delay_alu instid0(VALU_DEP_3)
	v_fmac_f32_e32 v52, v54, v8
	v_mul_f32_e32 v8, v55, v8
	v_mul_f64_e32 v[4:5], s[2:3], v[20:21]
	v_cvt_f64_f32_e32 v[20:21], v17
	v_cvt_f64_f32_e32 v[50:51], v50
	s_wait_dscnt 0x0
	v_mul_f32_e32 v17, v58, v12
	v_fma_f32 v8, v54, v9, -v8
	v_mul_f32_e32 v54, v58, v13
	scratch_load_b64 v[58:59], off, off offset:160 th:TH_LOAD_LU ; 8-byte Folded Reload
	v_cvt_f64_f32_e32 v[52:53], v52
	v_cvt_f64_f32_e32 v[8:9], v8
	v_fmac_f32_e32 v54, v57, v12
	v_fma_f32 v57, v57, v13, -v17
	v_cvt_f32_f64_e32 v17, v[26:27]
	s_delay_alu instid0(VALU_DEP_3)
	v_cvt_f64_f32_e32 v[12:13], v54
	v_cvt_f32_f64_e32 v1, v[4:5]
	v_mul_f64_e32 v[4:5], s[2:3], v[20:21]
	v_mul_f64_e32 v[20:21], s[2:3], v[50:51]
	;; [unrolled: 1-line block ×4, first 2 shown]
	global_store_b64 v[28:29], v[16:17], off
	v_add_co_u32 v16, s0, v48, s6
	s_wait_alu 0xf1ff
	v_add_co_ci_u32_e64 v17, s0, s7, v49, s0
	global_store_b64 v[32:33], v[30:31], off
	v_add_co_u32 v28, s0, v16, s6
	s_wait_alu 0xf1ff
	v_add_co_ci_u32_e64 v29, s0, s7, v17, s0
	;; [unrolled: 4-line block ×3, first 2 shown]
	global_store_b64 v[44:45], v[18:19], off
	global_store_b64 v[48:49], v[36:37], off
	;; [unrolled: 1-line block ×5, first 2 shown]
	scratch_load_b64 v[37:38], off, off offset:32 th:TH_LOAD_LU ; 8-byte Folded Reload
	v_mul_f64_e32 v[12:13], s[2:3], v[12:13]
	ds_load_2addr_b64 v[16:19], v119 offset0:80 offset1:136
	v_add_co_u32 v24, s0, v24, s6
	v_cvt_f32_f64_e32 v1, v[20:21]
	scratch_load_b64 v[20:21], off, off offset:104 th:TH_LOAD_LU ; 8-byte Folded Reload
	v_cvt_f32_f64_e32 v0, v[4:5]
	s_wait_alu 0xf1ff
	v_add_co_ci_u32_e64 v25, s0, s7, v25, s0
	v_cvt_f32_f64_e32 v28, v[42:43]
	scratch_load_b64 v[48:49], off, off offset:56 th:TH_LOAD_LU ; 8-byte Folded Reload
	v_cvt_f32_f64_e32 v29, v[8:9]
	v_cvt_f32_f64_e32 v12, v[12:13]
	s_wait_loadcnt 0x3
	v_mul_f32_e32 v55, v59, v23
	v_mul_f32_e32 v56, v59, v22
	s_delay_alu instid0(VALU_DEP_2) | instskip(NEXT) | instid1(VALU_DEP_2)
	v_fmac_f32_e32 v55, v58, v22
	v_fma_f32 v56, v58, v23, -v56
	v_cvt_f64_f32_e32 v[22:23], v57
	s_delay_alu instid0(VALU_DEP_3) | instskip(NEXT) | instid1(VALU_DEP_3)
	v_cvt_f64_f32_e32 v[26:27], v55
	v_cvt_f64_f32_e32 v[54:55], v56
	scratch_load_b64 v[56:57], off, off offset:16 th:TH_LOAD_LU ; 8-byte Folded Reload
	v_mul_f64_e32 v[22:23], s[2:3], v[22:23]
	v_mul_f64_e32 v[26:27], s[2:3], v[26:27]
	;; [unrolled: 1-line block ×3, first 2 shown]
	s_wait_loadcnt 0x2
	v_mul_f32_e32 v8, v21, v7
	v_mul_f32_e32 v4, v21, v6
	s_delay_alu instid0(VALU_DEP_2) | instskip(NEXT) | instid1(VALU_DEP_2)
	v_fmac_f32_e32 v8, v20, v6
	v_fma_f32 v9, v20, v7, -v4
	ds_load_2addr_b64 v[4:7], v118 offset0:58 offset1:114
	v_cvt_f64_f32_e32 v[30:31], v8
	v_cvt_f32_f64_e32 v13, v[22:23]
	ds_load_2addr_b64 v[20:23], v116 offset0:36 offset1:92
	v_cvt_f32_f64_e32 v26, v[26:27]
	v_cvt_f32_f64_e32 v27, v[46:47]
	s_clause 0x1
	scratch_load_b64 v[46:47], off, off offset:48 th:TH_LOAD_LU
	scratch_load_b64 v[51:52], off, off offset:24 th:TH_LOAD_LU
	v_mul_f32_e32 v34, v38, v11
	v_mul_f32_e32 v8, v38, v10
	scratch_load_b64 v[38:39], off, off offset:64 th:TH_LOAD_LU ; 8-byte Folded Reload
	v_cvt_f64_f32_e32 v[32:33], v9
	v_fmac_f32_e32 v34, v37, v10
	v_fma_f32 v37, v37, v11, -v8
	s_delay_alu instid0(VALU_DEP_2) | instskip(SKIP_2) | instid1(VALU_DEP_3)
	v_cvt_f64_f32_e32 v[34:35], v34
	v_mul_f64_e32 v[30:31], s[2:3], v[30:31]
	v_mul_f64_e32 v[32:33], s[2:3], v[32:33]
	;; [unrolled: 1-line block ×3, first 2 shown]
	s_delay_alu instid0(VALU_DEP_3) | instskip(NEXT) | instid1(VALU_DEP_3)
	v_cvt_f32_f64_e32 v30, v[30:31]
	v_cvt_f32_f64_e32 v31, v[32:33]
	s_delay_alu instid0(VALU_DEP_3)
	v_cvt_f32_f64_e32 v34, v[34:35]
	s_wait_loadcnt_dscnt 0x200
	v_mul_f32_e32 v44, v47, v21
	v_mul_f32_e32 v45, v47, v20
	s_wait_loadcnt 0x0
	v_mul_f32_e32 v36, v39, v15
	s_delay_alu instid0(VALU_DEP_3) | instskip(NEXT) | instid1(VALU_DEP_3)
	v_dual_mul_f32 v9, v39, v14 :: v_dual_fmac_f32 v44, v46, v20
	v_fma_f32 v45, v46, v21, -v45
	s_delay_alu instid0(VALU_DEP_3) | instskip(NEXT) | instid1(VALU_DEP_3)
	v_fmac_f32_e32 v36, v38, v14
	v_fma_f32 v38, v38, v15, -v9
	ds_load_2addr_b64 v[8:11], v117 offset0:14 offset1:70
	v_cvt_f64_f32_e32 v[14:15], v37
	v_cvt_f64_f32_e32 v[36:37], v36
	;; [unrolled: 1-line block ×3, first 2 shown]
	s_wait_dscnt 0x0
	v_mul_f32_e32 v46, v52, v9
	v_mul_f32_e32 v47, v52, v8
	scratch_load_b64 v[52:53], off, off offset:40 th:TH_LOAD_LU ; 8-byte Folded Reload
	v_mul_f32_e32 v40, v49, v17
	v_fmac_f32_e32 v46, v51, v8
	v_fma_f32 v47, v51, v9, -v47
	s_delay_alu instid0(VALU_DEP_3)
	v_fmac_f32_e32 v40, v48, v16
	v_mul_f32_e32 v16, v49, v16
	scratch_load_b64 v[49:50], off, off offset:72 th:TH_LOAD_LU ; 8-byte Folded Reload
	v_cvt_f64_f32_e32 v[8:9], v46
	v_cvt_f64_f32_e32 v[40:41], v40
	v_fma_f32 v16, v48, v17, -v16
	v_mul_f64_e32 v[14:15], s[2:3], v[14:15]
	v_mul_f64_e32 v[36:37], s[2:3], v[36:37]
	v_mul_f64_e32 v[38:39], s[2:3], v[38:39]
	v_mul_f64_e32 v[8:9], s[2:3], v[8:9]
	v_mul_f64_e32 v[40:41], s[2:3], v[40:41]
	v_cvt_f32_f64_e32 v35, v[14:15]
	v_cvt_f32_f64_e32 v36, v[36:37]
	v_cvt_f32_f64_e32 v37, v[38:39]
	v_cvt_f32_f64_e32 v8, v[8:9]
	v_cvt_f32_f64_e32 v40, v[40:41]
	s_wait_loadcnt 0x1
	v_mul_f32_e32 v48, v53, v19
	s_delay_alu instid0(VALU_DEP_1) | instskip(SKIP_3) | instid1(VALU_DEP_2)
	v_fmac_f32_e32 v48, v52, v18
	s_wait_loadcnt 0x0
	v_mul_f32_e32 v42, v50, v5
	v_dual_mul_f32 v43, v50, v4 :: v_dual_mul_f32 v50, v57, v7
	v_fmac_f32_e32 v42, v49, v4
	s_delay_alu instid0(VALU_DEP_2) | instskip(NEXT) | instid1(VALU_DEP_3)
	v_fma_f32 v43, v49, v5, -v43
	v_fmac_f32_e32 v50, v56, v6
	v_mul_f32_e32 v6, v57, v6
	scratch_load_b64 v[57:58], off, off offset:80 th:TH_LOAD_LU ; 8-byte Folded Reload
	v_mul_f32_e32 v49, v53, v18
	v_cvt_f64_f32_e32 v[4:5], v16
	v_cvt_f64_f32_e32 v[16:17], v42
	;; [unrolled: 1-line block ×4, first 2 shown]
	v_fma_f32 v49, v52, v19, -v49
	v_cvt_f64_f32_e32 v[44:45], v45
	v_fma_f32 v6, v56, v7, -v6
	v_cvt_f64_f32_e32 v[18:19], v47
	v_cvt_f64_f32_e32 v[46:47], v48
	;; [unrolled: 1-line block ×5, first 2 shown]
	v_add_co_u32 v56, s0, v24, s6
	v_mul_f64_e32 v[4:5], s[2:3], v[4:5]
	v_mul_f64_e32 v[16:17], s[2:3], v[16:17]
	;; [unrolled: 1-line block ×5, first 2 shown]
	v_cvt_f32_f64_e32 v41, v[4:5]
	v_cvt_f32_f64_e32 v4, v[16:17]
	;; [unrolled: 1-line block ×5, first 2 shown]
	s_wait_loadcnt 0x0
	v_mul_f32_e32 v52, v58, v23
	v_mul_f32_e32 v53, v58, v22
	scratch_load_b64 v[58:59], off, off offset:88 th:TH_LOAD_LU ; 8-byte Folded Reload
	v_fmac_f32_e32 v52, v57, v22
	v_fma_f32 v22, v57, v23, -v53
	s_wait_alu 0xf1ff
	v_add_co_ci_u32_e64 v57, s0, s7, v25, s0
	s_delay_alu instid0(VALU_DEP_2) | instskip(NEXT) | instid1(VALU_DEP_1)
	v_cvt_f64_f32_e32 v[22:23], v22
	v_mul_f64_e32 v[22:23], s[2:3], v[22:23]
	s_delay_alu instid0(VALU_DEP_1) | instskip(SKIP_3) | instid1(VALU_DEP_2)
	v_cvt_f32_f64_e32 v7, v[22:23]
	s_wait_loadcnt 0x0
	v_mul_f32_e32 v54, v59, v11
	v_mul_f32_e32 v55, v59, v10
	v_fmac_f32_e32 v54, v58, v10
	s_delay_alu instid0(VALU_DEP_2) | instskip(SKIP_2) | instid1(VALU_DEP_4)
	v_fma_f32 v55, v58, v11, -v55
	v_cvt_f64_f32_e32 v[10:11], v52
	v_add_co_u32 v58, s0, v56, s6
	v_cvt_f64_f32_e32 v[52:53], v54
	s_delay_alu instid0(VALU_DEP_4) | instskip(SKIP_4) | instid1(VALU_DEP_2)
	v_cvt_f64_f32_e32 v[54:55], v55
	s_wait_alu 0xf1ff
	v_add_co_ci_u32_e64 v59, s0, s7, v57, s0
	v_add_co_u32 v60, s0, v58, s8
	s_wait_alu 0xf1ff
	v_add_co_ci_u32_e64 v61, s0, s9, v59, s0
	global_store_b64 v[24:25], v[0:1], off
	global_store_b64 v[56:57], v[28:29], off
	global_store_b64 v[58:59], v[12:13], off
	global_store_b64 v[60:61], v[26:27], off
	v_mul_f64_e32 v[0:1], s[2:3], v[42:43]
	v_mul_f64_e32 v[12:13], s[2:3], v[44:45]
	;; [unrolled: 1-line block ×5, first 2 shown]
	v_add_co_u32 v32, s0, v60, s6
	s_wait_alu 0xf1ff
	v_add_co_ci_u32_e64 v33, s0, s7, v61, s0
	s_delay_alu instid0(VALU_DEP_2) | instskip(SKIP_1) | instid1(VALU_DEP_2)
	v_add_co_u32 v14, s0, v32, s6
	s_wait_alu 0xf1ff
	v_add_co_ci_u32_e64 v15, s0, s7, v33, s0
	global_store_b64 v[32:33], v[30:31], off
	v_add_co_u32 v38, s0, v14, s6
	s_wait_alu 0xf1ff
	v_add_co_ci_u32_e64 v39, s0, s7, v15, s0
	global_store_b64 v[14:15], v[34:35], off
	;; [unrolled: 4-line block ×3, first 2 shown]
	v_mul_f64_e32 v[10:11], s[2:3], v[10:11]
	v_add_co_u32 v20, s0, v16, s6
	v_mul_f64_e32 v[42:43], s[2:3], v[52:53]
	v_mul_f64_e32 v[44:45], s[2:3], v[54:55]
	s_wait_alu 0xf1ff
	v_add_co_ci_u32_e64 v21, s0, s7, v17, s0
	v_add_co_u32 v22, s0, v20, s6
	global_store_b64 v[16:17], v[40:41], off
	s_wait_alu 0xf1ff
	v_add_co_ci_u32_e64 v23, s0, s7, v21, s0
	v_add_co_u32 v14, s0, v22, s6
	v_cvt_f32_f64_e32 v0, v[0:1]
	v_cvt_f32_f64_e32 v1, v[12:13]
	;; [unrolled: 1-line block ×5, first 2 shown]
	s_wait_alu 0xf1ff
	v_add_co_ci_u32_e64 v15, s0, s7, v23, s0
	v_add_co_u32 v24, s0, v14, s8
	global_store_b64 v[20:21], v[4:5], off
	s_wait_alu 0xf1ff
	v_add_co_ci_u32_e64 v25, s0, s9, v15, s0
	v_add_co_u32 v16, s0, v24, s6
	s_wait_alu 0xf1ff
	s_delay_alu instid0(VALU_DEP_2) | instskip(NEXT) | instid1(VALU_DEP_2)
	v_add_co_ci_u32_e64 v17, s0, s7, v25, s0
	v_add_co_u32 v4, s0, v16, s6
	s_wait_alu 0xf1ff
	s_delay_alu instid0(VALU_DEP_2)
	v_add_co_ci_u32_e64 v5, s0, s7, v17, s0
	v_cvt_f32_f64_e32 v6, v[10:11]
	v_cvt_f32_f64_e32 v10, v[42:43]
	;; [unrolled: 1-line block ×3, first 2 shown]
	global_store_b64 v[22:23], v[0:1], off
	v_add_co_u32 v0, s0, v4, s6
	s_wait_alu 0xf1ff
	v_add_co_ci_u32_e64 v1, s0, s7, v5, s0
	global_store_b64 v[14:15], v[8:9], off
	global_store_b64 v[24:25], v[12:13], off
	;; [unrolled: 1-line block ×5, first 2 shown]
	s_and_b32 exec_lo, exec_lo, vcc_lo
	s_cbranch_execz .LBB0_23
; %bb.22:
	scratch_load_b64 v[16:17], off, off offset:8 th:TH_LOAD_LU ; 8-byte Folded Reload
	v_mad_co_u64_u32 v[0:1], null, 0xffffe320, s4, v[0:1]
	s_mul_i32 s0, s5, 0xffffe320
	s_wait_alu 0xfffe
	s_sub_co_i32 s0, s0, s4
	s_wait_alu 0xfffe
	s_delay_alu instid0(VALU_DEP_1)
	v_add_nc_u32_e32 v1, s0, v1
	s_wait_loadcnt 0x0
	global_load_b64 v[4:5], v[16:17], off offset:3584
	ds_load_b64 v[6:7], v255 offset:3584
	ds_load_b64 v[8:9], v255 offset:7504
	;; [unrolled: 1-line block ×4, first 2 shown]
	s_wait_loadcnt_dscnt 0x3
	v_mul_f32_e32 v14, v7, v5
	v_mul_f32_e32 v5, v6, v5
	s_delay_alu instid0(VALU_DEP_2) | instskip(NEXT) | instid1(VALU_DEP_2)
	v_fmac_f32_e32 v14, v6, v4
	v_fma_f32 v6, v4, v7, -v5
	s_delay_alu instid0(VALU_DEP_2) | instskip(SKIP_3) | instid1(VALU_DEP_2)
	v_cvt_f64_f32_e32 v[4:5], v14
	scratch_load_b64 v[14:15], off, off th:TH_LOAD_LU ; 8-byte Folded Reload
	v_cvt_f64_f32_e32 v[6:7], v6
	v_mul_f64_e32 v[4:5], s[2:3], v[4:5]
	v_mul_f64_e32 v[6:7], s[2:3], v[6:7]
	s_delay_alu instid0(VALU_DEP_2) | instskip(NEXT) | instid1(VALU_DEP_2)
	v_cvt_f32_f64_e32 v4, v[4:5]
	v_cvt_f32_f64_e32 v5, v[6:7]
	s_wait_loadcnt 0x0
	v_mov_b32_e32 v18, v14
	s_delay_alu instid0(VALU_DEP_1) | instskip(NEXT) | instid1(VALU_DEP_1)
	v_mad_co_u64_u32 v[14:15], null, s4, v18, 0
	v_mov_b32_e32 v6, v15
	s_delay_alu instid0(VALU_DEP_1) | instskip(NEXT) | instid1(VALU_DEP_1)
	v_mad_co_u64_u32 v[6:7], null, s5, v18, v[6:7]
	v_mov_b32_e32 v15, v6
	s_delay_alu instid0(VALU_DEP_1) | instskip(NEXT) | instid1(VALU_DEP_1)
	v_lshlrev_b64_e32 v[6:7], 3, v[14:15]
	v_add_co_u32 v2, vcc_lo, v2, v6
	s_wait_alu 0xfffd
	s_delay_alu instid0(VALU_DEP_2)
	v_add_co_ci_u32_e32 v3, vcc_lo, v3, v7, vcc_lo
	global_store_b64 v[2:3], v[4:5], off
	global_load_b64 v[2:3], v[16:17], off offset:7504
	s_wait_loadcnt_dscnt 0x2
	v_mul_f32_e32 v4, v9, v3
	v_mul_f32_e32 v3, v8, v3
	s_delay_alu instid0(VALU_DEP_2) | instskip(NEXT) | instid1(VALU_DEP_2)
	v_fmac_f32_e32 v4, v8, v2
	v_fma_f32 v5, v2, v9, -v3
	s_delay_alu instid0(VALU_DEP_2) | instskip(NEXT) | instid1(VALU_DEP_2)
	v_cvt_f64_f32_e32 v[2:3], v4
	v_cvt_f64_f32_e32 v[4:5], v5
	s_delay_alu instid0(VALU_DEP_2) | instskip(NEXT) | instid1(VALU_DEP_2)
	v_mul_f64_e32 v[2:3], s[2:3], v[2:3]
	v_mul_f64_e32 v[4:5], s[2:3], v[4:5]
	s_delay_alu instid0(VALU_DEP_2) | instskip(NEXT) | instid1(VALU_DEP_2)
	v_cvt_f32_f64_e32 v2, v[2:3]
	v_cvt_f32_f64_e32 v3, v[4:5]
	global_store_b64 v[0:1], v[2:3], off
	global_load_b64 v[2:3], v[16:17], off offset:11424
	v_add_co_u32 v0, vcc_lo, v0, s6
	s_wait_alu 0xfffd
	v_add_co_ci_u32_e32 v1, vcc_lo, s7, v1, vcc_lo
	s_wait_loadcnt_dscnt 0x1
	v_mul_f32_e32 v4, v11, v3
	v_mul_f32_e32 v3, v10, v3
	s_delay_alu instid0(VALU_DEP_2) | instskip(NEXT) | instid1(VALU_DEP_2)
	v_fmac_f32_e32 v4, v10, v2
	v_fma_f32 v5, v2, v11, -v3
	s_delay_alu instid0(VALU_DEP_2) | instskip(NEXT) | instid1(VALU_DEP_2)
	v_cvt_f64_f32_e32 v[2:3], v4
	v_cvt_f64_f32_e32 v[4:5], v5
	s_delay_alu instid0(VALU_DEP_2) | instskip(NEXT) | instid1(VALU_DEP_2)
	v_mul_f64_e32 v[2:3], s[2:3], v[2:3]
	v_mul_f64_e32 v[4:5], s[2:3], v[4:5]
	s_delay_alu instid0(VALU_DEP_2) | instskip(NEXT) | instid1(VALU_DEP_2)
	v_cvt_f32_f64_e32 v2, v[2:3]
	v_cvt_f32_f64_e32 v3, v[4:5]
	global_store_b64 v[0:1], v[2:3], off
	global_load_b64 v[2:3], v[16:17], off offset:15344
	v_add_co_u32 v0, vcc_lo, v0, s6
	s_wait_alu 0xfffd
	v_add_co_ci_u32_e32 v1, vcc_lo, s7, v1, vcc_lo
	s_wait_loadcnt_dscnt 0x0
	v_mul_f32_e32 v4, v13, v3
	v_mul_f32_e32 v3, v12, v3
	s_delay_alu instid0(VALU_DEP_2) | instskip(NEXT) | instid1(VALU_DEP_2)
	v_fmac_f32_e32 v4, v12, v2
	v_fma_f32 v5, v2, v13, -v3
	s_delay_alu instid0(VALU_DEP_2) | instskip(NEXT) | instid1(VALU_DEP_2)
	v_cvt_f64_f32_e32 v[2:3], v4
	v_cvt_f64_f32_e32 v[4:5], v5
	s_delay_alu instid0(VALU_DEP_2) | instskip(NEXT) | instid1(VALU_DEP_2)
	v_mul_f64_e32 v[2:3], s[2:3], v[2:3]
	v_mul_f64_e32 v[4:5], s[2:3], v[4:5]
	s_delay_alu instid0(VALU_DEP_2) | instskip(NEXT) | instid1(VALU_DEP_2)
	v_cvt_f32_f64_e32 v2, v[2:3]
	v_cvt_f32_f64_e32 v3, v[4:5]
	global_store_b64 v[0:1], v[2:3], off
.LBB0_23:
	s_nop 0
	s_sendmsg sendmsg(MSG_DEALLOC_VGPRS)
	s_endpgm
	.section	.rodata,"a",@progbits
	.p2align	6, 0x0
	.amdhsa_kernel bluestein_single_fwd_len1960_dim1_sp_op_CI_CI
		.amdhsa_group_segment_fixed_size 15680
		.amdhsa_private_segment_fixed_size 444
		.amdhsa_kernarg_size 104
		.amdhsa_user_sgpr_count 2
		.amdhsa_user_sgpr_dispatch_ptr 0
		.amdhsa_user_sgpr_queue_ptr 0
		.amdhsa_user_sgpr_kernarg_segment_ptr 1
		.amdhsa_user_sgpr_dispatch_id 0
		.amdhsa_user_sgpr_private_segment_size 0
		.amdhsa_wavefront_size32 1
		.amdhsa_uses_dynamic_stack 0
		.amdhsa_enable_private_segment 1
		.amdhsa_system_sgpr_workgroup_id_x 1
		.amdhsa_system_sgpr_workgroup_id_y 0
		.amdhsa_system_sgpr_workgroup_id_z 0
		.amdhsa_system_sgpr_workgroup_info 0
		.amdhsa_system_vgpr_workitem_id 0
		.amdhsa_next_free_vgpr 256
		.amdhsa_next_free_sgpr 16
		.amdhsa_reserve_vcc 1
		.amdhsa_float_round_mode_32 0
		.amdhsa_float_round_mode_16_64 0
		.amdhsa_float_denorm_mode_32 3
		.amdhsa_float_denorm_mode_16_64 3
		.amdhsa_fp16_overflow 0
		.amdhsa_workgroup_processor_mode 1
		.amdhsa_memory_ordered 1
		.amdhsa_forward_progress 0
		.amdhsa_round_robin_scheduling 0
		.amdhsa_exception_fp_ieee_invalid_op 0
		.amdhsa_exception_fp_denorm_src 0
		.amdhsa_exception_fp_ieee_div_zero 0
		.amdhsa_exception_fp_ieee_overflow 0
		.amdhsa_exception_fp_ieee_underflow 0
		.amdhsa_exception_fp_ieee_inexact 0
		.amdhsa_exception_int_div_zero 0
	.end_amdhsa_kernel
	.text
.Lfunc_end0:
	.size	bluestein_single_fwd_len1960_dim1_sp_op_CI_CI, .Lfunc_end0-bluestein_single_fwd_len1960_dim1_sp_op_CI_CI
                                        ; -- End function
	.section	.AMDGPU.csdata,"",@progbits
; Kernel info:
; codeLenInByte = 40236
; NumSgprs: 18
; NumVgprs: 256
; ScratchSize: 444
; MemoryBound: 0
; FloatMode: 240
; IeeeMode: 1
; LDSByteSize: 15680 bytes/workgroup (compile time only)
; SGPRBlocks: 2
; VGPRBlocks: 31
; NumSGPRsForWavesPerEU: 18
; NumVGPRsForWavesPerEU: 256
; Occupancy: 4
; WaveLimiterHint : 1
; COMPUTE_PGM_RSRC2:SCRATCH_EN: 1
; COMPUTE_PGM_RSRC2:USER_SGPR: 2
; COMPUTE_PGM_RSRC2:TRAP_HANDLER: 0
; COMPUTE_PGM_RSRC2:TGID_X_EN: 1
; COMPUTE_PGM_RSRC2:TGID_Y_EN: 0
; COMPUTE_PGM_RSRC2:TGID_Z_EN: 0
; COMPUTE_PGM_RSRC2:TIDIG_COMP_CNT: 0
	.text
	.p2alignl 7, 3214868480
	.fill 96, 4, 3214868480
	.type	__hip_cuid_ff7428d9e9153cfa,@object ; @__hip_cuid_ff7428d9e9153cfa
	.section	.bss,"aw",@nobits
	.globl	__hip_cuid_ff7428d9e9153cfa
__hip_cuid_ff7428d9e9153cfa:
	.byte	0                               ; 0x0
	.size	__hip_cuid_ff7428d9e9153cfa, 1

	.ident	"AMD clang version 19.0.0git (https://github.com/RadeonOpenCompute/llvm-project roc-6.4.0 25133 c7fe45cf4b819c5991fe208aaa96edf142730f1d)"
	.section	".note.GNU-stack","",@progbits
	.addrsig
	.addrsig_sym __hip_cuid_ff7428d9e9153cfa
	.amdgpu_metadata
---
amdhsa.kernels:
  - .args:
      - .actual_access:  read_only
        .address_space:  global
        .offset:         0
        .size:           8
        .value_kind:     global_buffer
      - .actual_access:  read_only
        .address_space:  global
        .offset:         8
        .size:           8
        .value_kind:     global_buffer
      - .actual_access:  read_only
        .address_space:  global
        .offset:         16
        .size:           8
        .value_kind:     global_buffer
      - .actual_access:  read_only
        .address_space:  global
        .offset:         24
        .size:           8
        .value_kind:     global_buffer
      - .actual_access:  read_only
        .address_space:  global
        .offset:         32
        .size:           8
        .value_kind:     global_buffer
      - .offset:         40
        .size:           8
        .value_kind:     by_value
      - .address_space:  global
        .offset:         48
        .size:           8
        .value_kind:     global_buffer
      - .address_space:  global
        .offset:         56
        .size:           8
        .value_kind:     global_buffer
      - .address_space:  global
        .offset:         64
        .size:           8
        .value_kind:     global_buffer
      - .address_space:  global
        .offset:         72
        .size:           8
        .value_kind:     global_buffer
      - .offset:         80
        .size:           4
        .value_kind:     by_value
      - .address_space:  global
        .offset:         88
        .size:           8
        .value_kind:     global_buffer
      - .address_space:  global
        .offset:         96
        .size:           8
        .value_kind:     global_buffer
    .group_segment_fixed_size: 15680
    .kernarg_segment_align: 8
    .kernarg_segment_size: 104
    .language:       OpenCL C
    .language_version:
      - 2
      - 0
    .max_flat_workgroup_size: 56
    .name:           bluestein_single_fwd_len1960_dim1_sp_op_CI_CI
    .private_segment_fixed_size: 444
    .sgpr_count:     18
    .sgpr_spill_count: 0
    .symbol:         bluestein_single_fwd_len1960_dim1_sp_op_CI_CI.kd
    .uniform_work_group_size: 1
    .uses_dynamic_stack: false
    .vgpr_count:     256
    .vgpr_spill_count: 110
    .wavefront_size: 32
    .workgroup_processor_mode: 1
amdhsa.target:   amdgcn-amd-amdhsa--gfx1201
amdhsa.version:
  - 1
  - 2
...

	.end_amdgpu_metadata
